;; amdgpu-corpus repo=ROCm/rocFFT kind=compiled arch=gfx906 opt=O3
	.text
	.amdgcn_target "amdgcn-amd-amdhsa--gfx906"
	.amdhsa_code_object_version 6
	.protected	bluestein_single_back_len1536_dim1_dp_op_CI_CI ; -- Begin function bluestein_single_back_len1536_dim1_dp_op_CI_CI
	.globl	bluestein_single_back_len1536_dim1_dp_op_CI_CI
	.p2align	8
	.type	bluestein_single_back_len1536_dim1_dp_op_CI_CI,@function
bluestein_single_back_len1536_dim1_dp_op_CI_CI: ; @bluestein_single_back_len1536_dim1_dp_op_CI_CI
; %bb.0:
	s_load_dwordx4 s[0:3], s[4:5], 0x28
	s_mov_b32 s7, 0
	s_waitcnt lgkmcnt(0)
	v_mov_b32_e32 v1, s0
	v_mov_b32_e32 v2, s1
	v_cmp_lt_u64_e32 vcc, s[6:7], v[1:2]
	s_and_saveexec_b64 s[0:1], vcc
	s_cbranch_execz .LBB0_23
; %bb.1:
	s_load_dwordx2 s[12:13], s[4:5], 0x0
	s_load_dwordx2 s[14:15], s[4:5], 0x38
	v_mov_b32_e32 v146, s7
	s_movk_i32 s0, 0x60
	v_mov_b32_e32 v145, s6
	v_cmp_gt_u32_e32 vcc, s0, v0
	v_lshlrev_b32_e32 v146, 4, v0
	s_and_saveexec_b64 s[6:7], vcc
	s_cbranch_execz .LBB0_3
; %bb.2:
	s_load_dwordx2 s[0:1], s[4:5], 0x18
	v_or_b32_e32 v49, 0x180, v0
	v_mov_b32_e32 v103, 0xc00
	v_or_b32_e32 v104, 0x480, v0
	v_or_b32_e32 v71, 0x3000, v146
	s_waitcnt lgkmcnt(0)
	s_load_dwordx4 s[8:11], s[0:1], 0x0
	s_waitcnt lgkmcnt(0)
	v_mad_u64_u32 v[1:2], s[0:1], s10, v145, 0
	v_mad_u64_u32 v[3:4], s[0:1], s8, v0, 0
	s_movk_i32 s10, 0x2000
	v_mad_u64_u32 v[5:6], s[0:1], s11, v145, v[2:3]
	s_movk_i32 s11, 0x3000
	v_mad_u64_u32 v[6:7], s[0:1], s9, v0, v[4:5]
	v_mov_b32_e32 v2, v5
	v_lshlrev_b64 v[1:2], 4, v[1:2]
	v_mov_b32_e32 v4, v6
	v_mov_b32_e32 v7, s3
	v_lshlrev_b64 v[3:4], 4, v[3:4]
	v_add_co_u32_e64 v101, s[0:1], s2, v1
	v_addc_co_u32_e64 v102, s[0:1], v7, v2, s[0:1]
	v_add_co_u32_e64 v19, s[0:1], v101, v3
	v_addc_co_u32_e64 v20, s[0:1], v102, v4, s[0:1]
	v_mov_b32_e32 v1, s13
	v_add_co_u32_e64 v17, s[0:1], s12, v146
	v_addc_co_u32_e64 v18, s[0:1], 0, v1, s[0:1]
	s_mul_i32 s0, s9, 0x600
	s_mul_hi_u32 s2, s8, 0x600
	s_add_i32 s2, s2, s0
	s_mul_i32 s3, s8, 0x600
	v_mov_b32_e32 v1, s2
	v_add_co_u32_e64 v21, s[0:1], s3, v19
	v_addc_co_u32_e64 v22, s[0:1], v20, v1, s[0:1]
	global_load_dwordx4 v[1:4], v[19:20], off
	global_load_dwordx4 v[5:8], v[21:22], off
	global_load_dwordx4 v[9:12], v146, s[12:13]
	global_load_dwordx4 v[13:16], v146, s[12:13] offset:1536
	v_mov_b32_e32 v19, s2
	v_add_co_u32_e64 v31, s[0:1], s3, v21
	v_addc_co_u32_e64 v32, s[0:1], v22, v19, s[0:1]
	v_mov_b32_e32 v23, s2
	v_add_co_u32_e64 v43, s[0:1], s3, v31
	v_addc_co_u32_e64 v44, s[0:1], v32, v23, s[0:1]
	s_movk_i32 s0, 0x1000
	v_add_co_u32_e64 v45, s[0:1], s0, v17
	v_addc_co_u32_e64 v46, s[0:1], 0, v18, s[0:1]
	v_mad_u64_u32 v[47:48], s[0:1], s8, v49, 0
	global_load_dwordx4 v[19:22], v146, s[12:13] offset:3072
	global_load_dwordx4 v[23:26], v[31:32], off
	global_load_dwordx4 v[27:30], v[43:44], off
	v_lshlrev_b32_e32 v31, 4, v49
	global_load_dwordx4 v[31:34], v31, s[12:13]
	v_add_co_u32_e64 v67, s[0:1], s10, v17
	global_load_dwordx4 v[35:38], v[45:46], off offset:512
	global_load_dwordx4 v[39:42], v[45:46], off offset:3584
	v_mov_b32_e32 v45, v48
	v_addc_co_u32_e64 v68, s[0:1], 0, v18, s[0:1]
	v_mad_u64_u32 v[45:46], s[0:1], s9, v49, v[45:46]
	v_mad_u64_u32 v[51:52], s[0:1], s8, v103, v[43:44]
	v_mov_b32_e32 v48, v45
	v_lshlrev_b64 v[45:46], 4, v[47:48]
	s_mul_i32 s10, s9, 0xc00
	v_add_co_u32_e64 v43, s[0:1], v101, v45
	v_addc_co_u32_e64 v44, s[0:1], v102, v46, s[0:1]
	v_mov_b32_e32 v53, s2
	v_add_u32_e32 v52, s10, v52
	v_add_co_u32_e64 v55, s[0:1], s3, v51
	v_addc_co_u32_e64 v56, s[0:1], v52, v53, s[0:1]
	v_mov_b32_e32 v57, s2
	v_add_co_u32_e64 v69, s[0:1], s3, v55
	v_addc_co_u32_e64 v70, s[0:1], v56, v57, s[0:1]
	global_load_dwordx4 v[43:46], v[43:44], off
	v_add_co_u32_e64 v75, s[0:1], s3, v69
	global_load_dwordx4 v[47:50], v[51:52], off
	v_mov_b32_e32 v77, s2
	global_load_dwordx4 v[51:54], v[55:56], off
	s_nop 0
	global_load_dwordx4 v[55:58], v[69:70], off
	global_load_dwordx4 v[59:62], v[67:68], off offset:1024
	global_load_dwordx4 v[63:66], v[67:68], off offset:2560
	v_mov_b32_e32 v67, s2
	v_addc_co_u32_e64 v76, s[0:1], v70, v67, s[0:1]
	v_add_co_u32_e64 v79, s[0:1], s3, v75
	v_addc_co_u32_e64 v80, s[0:1], v76, v77, s[0:1]
	v_add_co_u32_e64 v91, s[0:1], s11, v17
	v_addc_co_u32_e64 v92, s[0:1], 0, v18, s[0:1]
	v_mov_b32_e32 v81, s2
	v_add_co_u32_e64 v93, s[0:1], s3, v79
	v_addc_co_u32_e64 v94, s[0:1], v80, v81, s[0:1]
	v_mad_u64_u32 v[95:96], s[0:1], s8, v104, 0
	global_load_dwordx4 v[67:70], v[75:76], off
	v_add_co_u32_e64 v97, s[0:1], s3, v93
	global_load_dwordx4 v[71:74], v71, s[12:13]
	s_movk_i32 s11, 0x4000
	global_load_dwordx4 v[75:78], v[79:80], off
	s_nop 0
	global_load_dwordx4 v[79:82], v[93:94], off
	global_load_dwordx4 v[83:86], v[91:92], off offset:1536
	global_load_dwordx4 v[87:90], v[91:92], off offset:3072
	v_mov_b32_e32 v91, s2
	v_addc_co_u32_e64 v98, s[0:1], v94, v91, s[0:1]
	v_mad_u64_u32 v[99:100], s[0:1], s9, v104, v[96:97]
	v_add_co_u32_e64 v115, s[0:1], s11, v17
	v_mov_b32_e32 v96, v99
	v_lshlrev_b64 v[95:96], 4, v[95:96]
	v_addc_co_u32_e64 v116, s[0:1], 0, v18, s[0:1]
	v_add_co_u32_e64 v95, s[0:1], v101, v95
	v_addc_co_u32_e64 v96, s[0:1], v102, v96, s[0:1]
	v_mad_u64_u32 v[117:118], s[0:1], s8, v103, v[97:98]
	v_lshlrev_b32_e32 v99, 4, v104
	global_load_dwordx4 v[91:94], v[97:98], off
	v_add_u32_e32 v118, s10, v118
	global_load_dwordx4 v[95:98], v[95:96], off
	v_add_co_u32_e64 v119, s[0:1], s3, v117
	global_load_dwordx4 v[99:102], v99, s[12:13]
	s_nop 0
	global_load_dwordx4 v[103:106], v[117:118], off
	global_load_dwordx4 v[107:110], v[115:116], off offset:512
	global_load_dwordx4 v[111:114], v[115:116], off offset:3584
	v_mov_b32_e32 v115, s2
	v_addc_co_u32_e64 v120, s[0:1], v118, v115, s[0:1]
	s_movk_i32 s0, 0x5000
	v_add_co_u32_e64 v17, s[0:1], s0, v17
	v_addc_co_u32_e64 v18, s[0:1], 0, v18, s[0:1]
	v_mov_b32_e32 v121, s2
	v_add_co_u32_e64 v123, s[0:1], s3, v119
	global_load_dwordx4 v[115:118], v[119:120], off
	v_addc_co_u32_e64 v124, s[0:1], v120, v121, s[0:1]
	global_load_dwordx4 v[119:122], v[17:18], off offset:1024
	s_nop 0
	global_load_dwordx4 v[123:126], v[123:124], off
	s_nop 0
	global_load_dwordx4 v[127:130], v[17:18], off offset:2560
	s_waitcnt vmcnt(29)
	v_mul_f64 v[17:18], v[3:4], v[11:12]
	v_mul_f64 v[11:12], v[1:2], v[11:12]
	s_waitcnt vmcnt(26)
	v_mul_f64 v[133:134], v[25:26], v[21:22]
	v_mul_f64 v[21:22], v[23:24], v[21:22]
	;; [unrolled: 1-line block ×4, first 2 shown]
	s_waitcnt vmcnt(23)
	v_mul_f64 v[135:136], v[29:30], v[37:38]
	v_mul_f64 v[37:38], v[27:28], v[37:38]
	v_fma_f64 v[1:2], v[1:2], v[9:10], v[17:18]
	v_fma_f64 v[3:4], v[3:4], v[9:10], -v[11:12]
	v_fma_f64 v[9:10], v[23:24], v[19:20], v[133:134]
	v_fma_f64 v[11:12], v[25:26], v[19:20], -v[21:22]
	s_waitcnt vmcnt(21)
	v_mul_f64 v[17:18], v[45:46], v[33:34]
	v_mul_f64 v[19:20], v[43:44], v[33:34]
	s_waitcnt vmcnt(20)
	v_mul_f64 v[21:22], v[49:50], v[41:42]
	v_mul_f64 v[23:24], v[47:48], v[41:42]
	v_fma_f64 v[5:6], v[5:6], v[13:14], v[131:132]
	v_fma_f64 v[7:8], v[7:8], v[13:14], -v[15:16]
	v_fma_f64 v[13:14], v[27:28], v[35:36], v[135:136]
	s_waitcnt vmcnt(17)
	v_mul_f64 v[25:26], v[53:54], v[61:62]
	v_mul_f64 v[27:28], v[51:52], v[61:62]
	v_fma_f64 v[15:16], v[29:30], v[35:36], -v[37:38]
	s_waitcnt vmcnt(16)
	v_mul_f64 v[29:30], v[57:58], v[65:66]
	v_mul_f64 v[33:34], v[55:56], v[65:66]
	v_fma_f64 v[17:18], v[43:44], v[31:32], v[17:18]
	v_fma_f64 v[19:20], v[45:46], v[31:32], -v[19:20]
	v_fma_f64 v[21:22], v[47:48], v[39:40], v[21:22]
	v_fma_f64 v[23:24], v[49:50], v[39:40], -v[23:24]
	;; [unrolled: 2-line block ×4, first 2 shown]
	ds_write_b128 v146, v[1:4]
	ds_write_b128 v146, v[5:8] offset:1536
	ds_write_b128 v146, v[9:12] offset:3072
	;; [unrolled: 1-line block ×7, first 2 shown]
	s_waitcnt vmcnt(14)
	v_mul_f64 v[1:2], v[69:70], v[73:74]
	v_mul_f64 v[3:4], v[67:68], v[73:74]
	s_waitcnt vmcnt(11)
	v_mul_f64 v[5:6], v[77:78], v[85:86]
	v_mul_f64 v[7:8], v[75:76], v[85:86]
	;; [unrolled: 3-line block ×3, first 2 shown]
	v_fma_f64 v[1:2], v[67:68], v[71:72], v[1:2]
	v_fma_f64 v[3:4], v[69:70], v[71:72], -v[3:4]
	v_fma_f64 v[5:6], v[75:76], v[83:84], v[5:6]
	v_fma_f64 v[7:8], v[77:78], v[83:84], -v[7:8]
	;; [unrolled: 2-line block ×3, first 2 shown]
	s_waitcnt vmcnt(5)
	v_mul_f64 v[13:14], v[93:94], v[109:110]
	v_mul_f64 v[15:16], v[91:92], v[109:110]
	;; [unrolled: 1-line block ×4, first 2 shown]
	s_waitcnt vmcnt(4)
	v_mul_f64 v[21:22], v[105:106], v[113:114]
	v_mul_f64 v[23:24], v[103:104], v[113:114]
	v_fma_f64 v[13:14], v[91:92], v[107:108], v[13:14]
	v_fma_f64 v[15:16], v[93:94], v[107:108], -v[15:16]
	v_fma_f64 v[17:18], v[95:96], v[99:100], v[17:18]
	v_fma_f64 v[19:20], v[97:98], v[99:100], -v[19:20]
	;; [unrolled: 2-line block ×3, first 2 shown]
	s_waitcnt vmcnt(2)
	v_mul_f64 v[25:26], v[117:118], v[121:122]
	v_mul_f64 v[27:28], v[115:116], v[121:122]
	s_waitcnt vmcnt(0)
	v_mul_f64 v[29:30], v[125:126], v[129:130]
	v_mul_f64 v[31:32], v[123:124], v[129:130]
	v_fma_f64 v[25:26], v[115:116], v[119:120], v[25:26]
	v_fma_f64 v[27:28], v[117:118], v[119:120], -v[27:28]
	v_fma_f64 v[29:30], v[123:124], v[127:128], v[29:30]
	v_fma_f64 v[31:32], v[125:126], v[127:128], -v[31:32]
	ds_write_b128 v146, v[1:4] offset:12288
	ds_write_b128 v146, v[5:8] offset:13824
	;; [unrolled: 1-line block ×8, first 2 shown]
.LBB0_3:
	s_or_b64 exec, exec, s[6:7]
	s_waitcnt lgkmcnt(0)
	s_barrier
	s_waitcnt lgkmcnt(0)
                                        ; implicit-def: $vgpr1_vgpr2
                                        ; implicit-def: $vgpr21_vgpr22
                                        ; implicit-def: $vgpr33_vgpr34
                                        ; implicit-def: $vgpr53_vgpr54
                                        ; implicit-def: $vgpr61_vgpr62
                                        ; implicit-def: $vgpr49_vgpr50
                                        ; implicit-def: $vgpr57_vgpr58
                                        ; implicit-def: $vgpr37_vgpr38
                                        ; implicit-def: $vgpr45_vgpr46
                                        ; implicit-def: $vgpr41_vgpr42
                                        ; implicit-def: $vgpr29_vgpr30
                                        ; implicit-def: $vgpr17_vgpr18
                                        ; implicit-def: $vgpr25_vgpr26
                                        ; implicit-def: $vgpr9_vgpr10
                                        ; implicit-def: $vgpr13_vgpr14
                                        ; implicit-def: $vgpr5_vgpr6
	s_and_saveexec_b64 s[0:1], vcc
	s_cbranch_execz .LBB0_5
; %bb.4:
	ds_read_b128 v[1:4], v146
	ds_read_b128 v[5:8], v146 offset:1536
	ds_read_b128 v[13:16], v146 offset:3072
	;; [unrolled: 1-line block ×15, first 2 shown]
.LBB0_5:
	s_or_b64 exec, exec, s[0:1]
	s_waitcnt lgkmcnt(7)
	v_add_f64 v[41:42], v[1:2], -v[41:42]
	v_add_f64 v[43:44], v[3:4], -v[43:44]
	s_waitcnt lgkmcnt(3)
	v_add_f64 v[57:58], v[25:26], -v[57:58]
	v_add_f64 v[59:60], v[27:28], -v[59:60]
	;; [unrolled: 1-line block ×4, first 2 shown]
	s_waitcnt lgkmcnt(1)
	v_add_f64 v[61:62], v[21:22], -v[61:62]
	v_add_f64 v[63:64], v[23:24], -v[63:64]
	;; [unrolled: 1-line block ×6, first 2 shown]
	s_waitcnt lgkmcnt(0)
	v_add_f64 v[53:54], v[29:30], -v[53:54]
	v_add_f64 v[55:56], v[31:32], -v[55:56]
	v_fma_f64 v[1:2], v[1:2], 2.0, -v[41:42]
	v_fma_f64 v[25:26], v[25:26], 2.0, -v[57:58]
	;; [unrolled: 1-line block ×6, first 2 shown]
	v_add_f64 v[35:36], v[7:8], -v[35:36]
	v_add_f64 v[39:40], v[11:12], -v[39:40]
	v_fma_f64 v[5:6], v[5:6], 2.0, -v[33:34]
	v_fma_f64 v[17:18], v[17:18], 2.0, -v[49:50]
	;; [unrolled: 1-line block ×6, first 2 shown]
	v_add_f64 v[59:60], v[41:42], -v[59:60]
	v_add_f64 v[57:58], v[43:44], v[57:58]
	v_add_f64 v[63:64], v[45:46], -v[63:64]
	v_add_f64 v[61:62], v[61:62], v[47:48]
	v_add_f64 v[51:52], v[33:34], -v[51:52]
	v_add_f64 v[55:56], v[37:38], -v[55:56]
	s_mov_b32 s0, 0x667f3bcd
	s_mov_b32 s1, 0xbfe6a09e
	;; [unrolled: 1-line block ×4, first 2 shown]
	v_fma_f64 v[3:4], v[3:4], 2.0, -v[43:44]
	v_fma_f64 v[15:16], v[15:16], 2.0, -v[47:48]
	;; [unrolled: 1-line block ×4, first 2 shown]
	v_add_f64 v[25:26], v[1:2], -v[25:26]
	v_add_f64 v[21:22], v[13:14], -v[21:22]
	v_fma_f64 v[41:42], v[41:42], 2.0, -v[59:60]
	v_fma_f64 v[43:44], v[43:44], 2.0, -v[57:58]
	;; [unrolled: 1-line block ×4, first 2 shown]
	v_add_f64 v[17:18], v[5:6], -v[17:18]
	v_add_f64 v[49:50], v[49:50], v[35:36]
	v_add_f64 v[29:30], v[9:10], -v[29:30]
	v_add_f64 v[53:54], v[53:54], v[39:40]
	v_fma_f64 v[33:34], v[33:34], 2.0, -v[51:52]
	v_fma_f64 v[37:38], v[37:38], 2.0, -v[55:56]
	v_fma_f64 v[69:70], v[63:64], s[2:3], v[59:60]
	v_add_f64 v[27:28], v[3:4], -v[27:28]
	v_add_f64 v[23:24], v[15:16], -v[23:24]
	v_fma_f64 v[1:2], v[1:2], 2.0, -v[25:26]
	v_fma_f64 v[13:14], v[13:14], 2.0, -v[21:22]
	v_add_f64 v[19:20], v[7:8], -v[19:20]
	v_add_f64 v[31:32], v[11:12], -v[31:32]
	v_fma_f64 v[5:6], v[5:6], 2.0, -v[17:18]
	v_fma_f64 v[35:36], v[35:36], 2.0, -v[49:50]
	;; [unrolled: 1-line block ×4, first 2 shown]
	v_fma_f64 v[65:66], v[45:46], s[0:1], v[41:42]
	v_fma_f64 v[67:68], v[47:48], s[0:1], v[43:44]
	v_fma_f64 v[71:72], v[61:62], s[2:3], v[57:58]
	v_fma_f64 v[105:106], v[61:62], s[0:1], v[69:70]
	v_fma_f64 v[61:62], v[37:38], s[0:1], v[33:34]
	v_fma_f64 v[3:4], v[3:4], 2.0, -v[27:28]
	v_fma_f64 v[15:16], v[15:16], 2.0, -v[23:24]
	;; [unrolled: 1-line block ×4, first 2 shown]
	v_add_f64 v[13:14], v[1:2], -v[13:14]
	v_fma_f64 v[47:48], v[47:48], s[0:1], v[65:66]
	v_fma_f64 v[45:46], v[45:46], s[2:3], v[67:68]
	;; [unrolled: 1-line block ×5, first 2 shown]
	v_add_f64 v[9:10], v[5:6], -v[9:10]
	v_fma_f64 v[39:40], v[39:40], s[0:1], v[61:62]
	v_add_f64 v[15:16], v[3:4], -v[15:16]
	v_add_f64 v[23:24], v[25:26], -v[23:24]
	v_add_f64 v[21:22], v[27:28], v[21:22]
	v_fma_f64 v[1:2], v[1:2], 2.0, -v[13:14]
	v_fma_f64 v[41:42], v[41:42], 2.0, -v[47:48]
	v_fma_f64 v[65:66], v[55:56], s[2:3], v[51:52]
	v_add_f64 v[11:12], v[7:8], -v[11:12]
	v_fma_f64 v[37:38], v[37:38], s[2:3], v[63:64]
	v_add_f64 v[31:32], v[17:18], -v[31:32]
	v_add_f64 v[29:30], v[29:30], v[19:20]
	v_fma_f64 v[55:56], v[55:56], s[2:3], v[67:68]
	v_fma_f64 v[5:6], v[5:6], 2.0, -v[9:10]
	v_fma_f64 v[33:34], v[33:34], 2.0, -v[39:40]
	s_mov_b32 s6, 0xcf328d46
	s_mov_b32 s7, 0xbfed906b
	v_fma_f64 v[3:4], v[3:4], 2.0, -v[15:16]
	v_fma_f64 v[43:44], v[43:44], 2.0, -v[45:46]
	;; [unrolled: 1-line block ×5, first 2 shown]
	v_fma_f64 v[53:54], v[53:54], s[0:1], v[65:66]
	v_fma_f64 v[7:8], v[7:8], 2.0, -v[11:12]
	v_fma_f64 v[35:36], v[35:36], 2.0, -v[37:38]
	;; [unrolled: 1-line block ×5, first 2 shown]
	v_add_f64 v[73:74], v[1:2], -v[5:6]
	v_fma_f64 v[5:6], v[33:34], s[6:7], v[41:42]
	s_mov_b32 s8, 0xa6aea964
	s_mov_b32 s9, 0xbfd87de2
	v_fma_f64 v[59:60], v[59:60], 2.0, -v[105:106]
	v_fma_f64 v[51:52], v[51:52], 2.0, -v[53:54]
	v_add_f64 v[75:76], v[3:4], -v[7:8]
	v_fma_f64 v[7:8], v[35:36], s[6:7], v[43:44]
	v_fma_f64 v[61:62], v[17:18], s[0:1], v[25:26]
	;; [unrolled: 1-line block ×5, first 2 shown]
	s_mov_b32 s11, 0x3fd87de2
	s_mov_b32 s10, s8
	;; [unrolled: 1-line block ×4, first 2 shown]
	v_fma_f64 v[65:66], v[51:52], s[8:9], v[59:60]
	v_fma_f64 v[83:84], v[33:34], s[10:11], v[7:8]
	;; [unrolled: 1-line block ×5, first 2 shown]
	v_fma_f64 v[61:62], v[1:2], 2.0, -v[73:74]
	v_fma_f64 v[63:64], v[3:4], 2.0, -v[75:76]
	v_fma_f64 v[1:2], v[39:40], s[10:11], v[47:48]
	v_fma_f64 v[3:4], v[37:38], s[10:11], v[45:46]
	;; [unrolled: 1-line block ×7, first 2 shown]
	v_add_f64 v[109:110], v[13:14], -v[11:12]
	v_add_f64 v[111:112], v[15:16], v[9:10]
	v_fma_f64 v[113:114], v[37:38], s[6:7], v[1:2]
	v_fma_f64 v[115:116], v[39:40], s[16:17], v[3:4]
	;; [unrolled: 1-line block ×6, first 2 shown]
	v_fma_f64 v[65:66], v[41:42], 2.0, -v[81:82]
	v_fma_f64 v[67:68], v[43:44], 2.0, -v[83:84]
	;; [unrolled: 1-line block ×14, first 2 shown]
	s_load_dwordx2 s[0:1], s[4:5], 0x8
	v_lshlrev_b32_e32 v148, 8, v0
	s_waitcnt lgkmcnt(0)
	s_barrier
	s_and_saveexec_b64 s[2:3], vcc
	s_cbranch_execz .LBB0_7
; %bb.6:
	ds_write_b128 v148, v[61:64]
	ds_write_b128 v148, v[65:68] offset:16
	ds_write_b128 v148, v[69:72] offset:32
	;; [unrolled: 1-line block ×15, first 2 shown]
.LBB0_7:
	s_or_b64 exec, exec, s[2:3]
	s_load_dwordx2 s[2:3], s[4:5], 0x20
	s_waitcnt lgkmcnt(0)
	s_barrier
	s_and_saveexec_b64 s[4:5], vcc
	s_cbranch_execz .LBB0_9
; %bb.8:
	ds_read_b128 v[61:64], v146
	ds_read_b128 v[65:68], v146 offset:1536
	ds_read_b128 v[69:72], v146 offset:3072
	;; [unrolled: 1-line block ×15, first 2 shown]
.LBB0_9:
	s_or_b64 exec, exec, s[4:5]
	v_mov_b32_e32 v2, s1
	v_and_b32_e32 v147, 15, v0
	s_movk_i32 s4, 0xf0
	v_mov_b32_e32 v1, s0
	v_mad_u64_u32 v[53:54], s[4:5], v147, s4, v[1:2]
	global_load_dwordx4 v[5:8], v[53:54], off
	global_load_dwordx4 v[17:20], v[53:54], off offset:16
	global_load_dwordx4 v[9:12], v[53:54], off offset:32
	;; [unrolled: 1-line block ×13, first 2 shown]
	s_nop 0
	global_load_dwordx4 v[53:56], v[53:54], off offset:224
	s_mov_b32 s4, 0x667f3bcd
	s_mov_b32 s5, 0xbfe6a09e
	;; [unrolled: 1-line block ×12, first 2 shown]
	s_waitcnt vmcnt(0) lgkmcnt(0)
	s_barrier
	v_mul_f64 v[125:126], v[67:68], v[7:8]
	v_mul_f64 v[129:130], v[71:72], v[19:20]
	;; [unrolled: 1-line block ×30, first 2 shown]
	v_fma_f64 v[69:70], v[69:70], v[17:18], -v[129:130]
	v_fma_f64 v[71:72], v[71:72], v[17:18], v[131:132]
	v_fma_f64 v[85:86], v[85:86], v[1:2], -v[137:138]
	v_fma_f64 v[87:88], v[87:88], v[1:2], v[139:140]
	;; [unrolled: 2-line block ×15, first 2 shown]
	v_add_f64 v[73:74], v[61:62], -v[73:74]
	v_add_f64 v[75:76], v[63:64], -v[75:76]
	;; [unrolled: 1-line block ×17, first 2 shown]
	v_add_f64 v[131:132], v[75:76], v[109:110]
	v_add_f64 v[133:134], v[93:94], -v[119:120]
	v_add_f64 v[135:136], v[95:96], v[117:118]
	v_fma_f64 v[125:126], v[61:62], 2.0, -v[73:74]
	v_fma_f64 v[127:128], v[63:64], 2.0, -v[75:76]
	v_add_f64 v[137:138], v[81:82], -v[115:116]
	v_add_f64 v[139:140], v[101:102], -v[123:124]
	v_add_f64 v[141:142], v[103:104], v[121:122]
	v_add_f64 v[143:144], v[83:84], v[113:114]
	v_fma_f64 v[61:62], v[73:74], 2.0, -v[129:130]
	v_fma_f64 v[63:64], v[75:76], 2.0, -v[131:132]
	;; [unrolled: 1-line block ×12, first 2 shown]
	v_fma_f64 v[69:70], v[73:74], s[4:5], v[61:62]
	v_fma_f64 v[71:72], v[75:76], s[4:5], v[63:64]
	;; [unrolled: 1-line block ×4, first 2 shown]
	v_fma_f64 v[97:98], v[97:98], 2.0, -v[117:118]
	v_fma_f64 v[99:100], v[99:100], 2.0, -v[119:120]
	;; [unrolled: 1-line block ×4, first 2 shown]
	v_fma_f64 v[67:68], v[75:76], s[4:5], v[69:70]
	v_fma_f64 v[71:72], v[73:74], s[6:7], v[71:72]
	v_fma_f64 v[65:66], v[89:90], 2.0, -v[113:114]
	v_fma_f64 v[69:70], v[91:92], 2.0, -v[115:116]
	;; [unrolled: 1-line block ×6, first 2 shown]
	v_fma_f64 v[153:154], v[153:154], s[4:5], v[93:94]
	v_fma_f64 v[151:152], v[151:152], s[6:7], v[95:96]
	v_add_f64 v[89:90], v[125:126], -v[85:86]
	v_add_f64 v[87:88], v[127:128], -v[87:88]
	;; [unrolled: 1-line block ×8, first 2 shown]
	v_fma_f64 v[83:84], v[149:150], 2.0, -v[153:154]
	v_fma_f64 v[81:82], v[155:156], 2.0, -v[151:152]
	v_fma_f64 v[65:66], v[133:134], s[6:7], v[129:130]
	v_add_f64 v[149:150], v[89:90], -v[97:98]
	v_add_f64 v[155:156], v[87:88], v[91:92]
	v_fma_f64 v[75:76], v[135:136], s[6:7], v[131:132]
	v_add_f64 v[113:114], v[99:100], -v[103:104]
	v_add_f64 v[115:116], v[101:102], v[105:106]
	v_fma_f64 v[85:86], v[141:142], s[6:7], v[143:144]
	v_fma_f64 v[63:64], v[63:64], 2.0, -v[71:72]
	v_fma_f64 v[69:70], v[139:140], s[6:7], v[137:138]
	v_fma_f64 v[135:136], v[135:136], s[4:5], v[65:66]
	v_fma_f64 v[65:66], v[89:90], 2.0, -v[149:150]
	v_fma_f64 v[73:74], v[87:88], 2.0, -v[155:156]
	;; [unrolled: 1-line block ×4, first 2 shown]
	v_fma_f64 v[133:134], v[133:134], s[6:7], v[75:76]
	v_fma_f64 v[139:140], v[139:140], s[6:7], v[85:86]
	v_fma_f64 v[61:62], v[61:62], 2.0, -v[67:68]
	v_fma_f64 v[141:142], v[141:142], s[4:5], v[69:70]
	v_fma_f64 v[69:70], v[129:130], 2.0, -v[135:136]
	v_fma_f64 v[121:122], v[81:82], s[8:9], v[63:64]
	v_fma_f64 v[123:124], v[95:96], s[4:5], v[65:66]
	;; [unrolled: 1-line block ×3, first 2 shown]
	v_fma_f64 v[75:76], v[131:132], 2.0, -v[133:134]
	v_fma_f64 v[131:132], v[143:144], 2.0, -v[139:140]
	;; [unrolled: 1-line block ×11, first 2 shown]
	v_fma_f64 v[85:86], v[83:84], s[8:9], v[61:62]
	v_fma_f64 v[83:84], v[83:84], s[16:17], v[121:122]
	;; [unrolled: 1-line block ×5, first 2 shown]
	v_add_f64 v[77:78], v[89:90], -v[91:92]
	v_add_f64 v[123:124], v[125:126], -v[97:98]
	;; [unrolled: 1-line block ×4, first 2 shown]
	v_fma_f64 v[109:110], v[113:114], s[6:7], v[149:150]
	v_fma_f64 v[111:112], v[115:116], s[6:7], v[155:156]
	;; [unrolled: 1-line block ×8, first 2 shown]
	v_fma_f64 v[79:80], v[89:90], 2.0, -v[77:78]
	v_fma_f64 v[121:122], v[125:126], 2.0, -v[123:124]
	;; [unrolled: 1-line block ×4, first 2 shown]
	v_fma_f64 v[117:118], v[115:116], s[4:5], v[109:110]
	v_fma_f64 v[119:120], v[113:114], s[6:7], v[111:112]
	;; [unrolled: 1-line block ×8, first 2 shown]
	v_add_f64 v[101:102], v[79:80], -v[89:90]
	v_add_f64 v[103:104], v[121:122], -v[99:100]
	;; [unrolled: 1-line block ×3, first 2 shown]
	v_add_f64 v[115:116], v[123:124], v[91:92]
	v_fma_f64 v[97:98], v[149:150], 2.0, -v[117:118]
	v_fma_f64 v[99:100], v[155:156], 2.0, -v[119:120]
	v_fma_f64 v[89:90], v[135:136], 2.0, -v[109:110]
	v_fma_f64 v[91:92], v[133:134], 2.0, -v[111:112]
	s_and_saveexec_b64 s[4:5], vcc
	s_cbranch_execz .LBB0_11
; %bb.10:
	v_fma_f64 v[125:126], v[67:68], 2.0, -v[105:106]
	v_fma_f64 v[67:68], v[123:124], 2.0, -v[115:116]
	v_fma_f64 v[123:124], v[121:122], 2.0, -v[103:104]
	v_fma_f64 v[121:122], v[79:80], 2.0, -v[101:102]
	v_fma_f64 v[63:64], v[63:64], 2.0, -v[83:84]
	v_fma_f64 v[61:62], v[61:62], 2.0, -v[81:82]
	v_fma_f64 v[127:128], v[71:72], 2.0, -v[107:108]
	v_fma_f64 v[71:72], v[75:76], 2.0, -v[87:88]
	v_fma_f64 v[75:76], v[73:74], 2.0, -v[95:96]
	v_fma_f64 v[73:74], v[65:66], 2.0, -v[93:94]
	v_fma_f64 v[69:70], v[69:70], 2.0, -v[85:86]
	v_fma_f64 v[65:66], v[77:78], 2.0, -v[113:114]
	s_movk_i32 s6, 0x700
	v_and_or_b32 v77, v146, s6, v147
	v_lshlrev_b32_e32 v77, 4, v77
	ds_write_b128 v77, v[121:124]
	ds_write_b128 v77, v[61:64] offset:256
	ds_write_b128 v77, v[73:76] offset:512
	;; [unrolled: 1-line block ×15, first 2 shown]
.LBB0_11:
	s_or_b64 exec, exec, s[4:5]
	v_mov_b32_e32 v62, s1
	s_load_dwordx4 s[4:7], s[2:3], 0x0
	s_movk_i32 s2, 0x50
	v_mov_b32_e32 v61, s0
	v_mad_u64_u32 v[121:122], s[0:1], v0, s2, v[61:62]
	s_waitcnt lgkmcnt(0)
	s_barrier
	global_load_dwordx4 v[61:64], v[121:122], off offset:3840
	global_load_dwordx4 v[69:72], v[121:122], off offset:3856
	global_load_dwordx4 v[65:68], v[121:122], off offset:3872
	global_load_dwordx4 v[73:76], v[121:122], off offset:3904
	global_load_dwordx4 v[77:80], v[121:122], off offset:3888
	ds_read_b128 v[121:124], v146
	ds_read_b128 v[125:128], v146 offset:4096
	ds_read_b128 v[129:132], v146 offset:8192
	;; [unrolled: 1-line block ×5, first 2 shown]
	s_mov_b32 s0, 0xe8584caa
	s_mov_b32 s1, 0x3febb67a
	;; [unrolled: 1-line block ×4, first 2 shown]
	s_waitcnt vmcnt(4) lgkmcnt(4)
	v_mul_f64 v[149:150], v[127:128], v[63:64]
	v_mul_f64 v[151:152], v[125:126], v[63:64]
	s_waitcnt vmcnt(2) lgkmcnt(2)
	v_mul_f64 v[155:156], v[135:136], v[67:68]
	v_mul_f64 v[157:158], v[133:134], v[67:68]
	;; [unrolled: 3-line block ×3, first 2 shown]
	v_mul_f64 v[153:154], v[131:132], v[71:72]
	v_mul_f64 v[163:164], v[129:130], v[71:72]
	s_waitcnt vmcnt(0)
	v_mul_f64 v[165:166], v[139:140], v[79:80]
	v_mul_f64 v[167:168], v[137:138], v[79:80]
	v_fma_f64 v[133:134], v[133:134], v[65:66], -v[155:156]
	v_fma_f64 v[135:136], v[135:136], v[65:66], v[157:158]
	v_fma_f64 v[143:144], v[143:144], v[73:74], v[159:160]
	v_fma_f64 v[141:142], v[141:142], v[73:74], -v[161:162]
	v_fma_f64 v[129:130], v[129:130], v[69:70], -v[153:154]
	v_fma_f64 v[125:126], v[125:126], v[61:62], -v[149:150]
	v_fma_f64 v[127:128], v[127:128], v[61:62], v[151:152]
	v_fma_f64 v[131:132], v[131:132], v[69:70], v[163:164]
	v_fma_f64 v[137:138], v[137:138], v[77:78], -v[165:166]
	v_fma_f64 v[139:140], v[139:140], v[77:78], v[167:168]
	v_add_f64 v[149:150], v[135:136], v[143:144]
	v_add_f64 v[151:152], v[133:134], v[141:142]
	;; [unrolled: 1-line block ×3, first 2 shown]
	v_add_f64 v[161:162], v[135:136], -v[143:144]
	v_add_f64 v[163:164], v[133:134], -v[141:142]
	v_add_f64 v[159:160], v[123:124], v[131:132]
	v_add_f64 v[155:156], v[129:130], v[137:138]
	v_add_f64 v[157:158], v[131:132], -v[139:140]
	v_fma_f64 v[149:150], v[149:150], -0.5, v[127:128]
	v_fma_f64 v[151:152], v[151:152], -0.5, v[125:126]
	v_add_f64 v[131:132], v[131:132], v[139:140]
	v_add_f64 v[129:130], v[129:130], -v[137:138]
	v_add_f64 v[125:126], v[125:126], v[133:134]
	v_add_f64 v[127:128], v[127:128], v[135:136]
	;; [unrolled: 1-line block ×3, first 2 shown]
	v_fma_f64 v[121:122], v[155:156], -0.5, v[121:122]
	v_fma_f64 v[135:136], v[163:164], s[2:3], v[149:150]
	v_fma_f64 v[137:138], v[161:162], s[2:3], v[151:152]
	;; [unrolled: 1-line block ×4, first 2 shown]
	v_fma_f64 v[123:124], v[131:132], -0.5, v[123:124]
	v_add_f64 v[125:126], v[125:126], v[141:142]
	v_add_f64 v[127:128], v[127:128], v[143:144]
	;; [unrolled: 1-line block ×3, first 2 shown]
	v_mul_f64 v[131:132], v[135:136], s[0:1]
	v_mul_f64 v[141:142], v[137:138], -0.5
	v_mul_f64 v[143:144], v[151:152], s[2:3]
	v_mul_f64 v[153:154], v[149:150], -0.5
	v_fma_f64 v[155:156], v[157:158], s[0:1], v[121:122]
	v_fma_f64 v[157:158], v[157:158], s[2:3], v[121:122]
	;; [unrolled: 1-line block ×4, first 2 shown]
	v_fma_f64 v[151:152], v[151:152], 0.5, v[131:132]
	v_fma_f64 v[149:150], v[149:150], s[0:1], v[141:142]
	v_fma_f64 v[143:144], v[135:136], 0.5, v[143:144]
	v_fma_f64 v[153:154], v[137:138], s[2:3], v[153:154]
	v_add_f64 v[121:122], v[133:134], v[125:126]
	v_add_f64 v[123:124], v[139:140], v[127:128]
	v_add_f64 v[129:130], v[133:134], -v[125:126]
	v_add_f64 v[131:132], v[139:140], -v[127:128]
	v_add_f64 v[125:126], v[155:156], v[151:152]
	v_add_f64 v[133:134], v[157:158], v[149:150]
	v_add_f64 v[127:128], v[159:160], v[143:144]
	v_add_f64 v[135:136], v[161:162], v[153:154]
	v_add_f64 v[141:142], v[155:156], -v[151:152]
	v_add_f64 v[137:138], v[157:158], -v[149:150]
	;; [unrolled: 1-line block ×4, first 2 shown]
	v_or_b32_e32 v149, 0x300, v0
	v_lshlrev_b32_e32 v149, 4, v149
	ds_write_b128 v146, v[121:124]
	ds_write_b128 v146, v[129:132] offset:12288
	ds_write_b128 v146, v[125:128] offset:4096
	;; [unrolled: 1-line block ×5, first 2 shown]
	s_waitcnt lgkmcnt(0)
	s_barrier
	s_and_saveexec_b64 s[2:3], vcc
	s_cbranch_execz .LBB0_13
; %bb.12:
	s_add_u32 s8, s12, 0x6000
	s_addc_u32 s9, s13, 0
	ds_read_b128 v[152:155], v146
	global_load_dwordx4 v[156:159], v146, s[8:9]
	v_add_co_u32_e64 v150, s[0:1], s8, v146
	v_mov_b32_e32 v151, s9
	v_addc_co_u32_e64 v151, s[0:1], 0, v151, s[0:1]
	s_movk_i32 s0, 0x1000
	v_add_co_u32_e64 v164, s[0:1], s0, v150
	v_addc_co_u32_e64 v165, s[0:1], 0, v151, s[0:1]
	s_movk_i32 s0, 0x2000
	s_waitcnt vmcnt(0) lgkmcnt(0)
	v_mul_f64 v[160:161], v[154:155], v[158:159]
	v_fma_f64 v[160:161], v[152:153], v[156:157], -v[160:161]
	v_mul_f64 v[152:153], v[152:153], v[158:159]
	v_fma_f64 v[162:163], v[154:155], v[156:157], v[152:153]
	ds_read_b128 v[152:155], v146 offset:1536
	global_load_dwordx4 v[156:159], v146, s[8:9] offset:1536
	ds_write_b128 v146, v[160:163]
	s_waitcnt vmcnt(0) lgkmcnt(1)
	v_mul_f64 v[160:161], v[154:155], v[158:159]
	v_fma_f64 v[160:161], v[152:153], v[156:157], -v[160:161]
	v_mul_f64 v[152:153], v[152:153], v[158:159]
	v_fma_f64 v[162:163], v[154:155], v[156:157], v[152:153]
	ds_read_b128 v[152:155], v146 offset:3072
	global_load_dwordx4 v[156:159], v146, s[8:9] offset:3072
	ds_write_b128 v146, v[160:163] offset:1536
	s_waitcnt vmcnt(0) lgkmcnt(1)
	v_mul_f64 v[160:161], v[154:155], v[158:159]
	v_fma_f64 v[160:161], v[152:153], v[156:157], -v[160:161]
	v_mul_f64 v[152:153], v[152:153], v[158:159]
	v_fma_f64 v[162:163], v[154:155], v[156:157], v[152:153]
	global_load_dwordx4 v[156:159], v[164:165], off offset:512
	ds_read_b128 v[152:155], v146 offset:4608
	ds_write_b128 v146, v[160:163] offset:3072
	s_waitcnt vmcnt(0) lgkmcnt(1)
	v_mul_f64 v[160:161], v[154:155], v[158:159]
	v_fma_f64 v[160:161], v[152:153], v[156:157], -v[160:161]
	v_mul_f64 v[152:153], v[152:153], v[158:159]
	v_fma_f64 v[162:163], v[154:155], v[156:157], v[152:153]
	v_or_b32_e32 v156, 0x1800, v146
	global_load_dwordx4 v[156:159], v156, s[8:9]
	ds_read_b128 v[152:155], v146 offset:6144
	ds_write_b128 v146, v[160:163] offset:4608
	s_waitcnt vmcnt(0) lgkmcnt(1)
	v_mul_f64 v[160:161], v[154:155], v[158:159]
	v_fma_f64 v[160:161], v[152:153], v[156:157], -v[160:161]
	v_mul_f64 v[152:153], v[152:153], v[158:159]
	v_fma_f64 v[162:163], v[154:155], v[156:157], v[152:153]
	global_load_dwordx4 v[156:159], v[164:165], off offset:3584
	ds_read_b128 v[152:155], v146 offset:7680
	v_add_co_u32_e64 v164, s[0:1], s0, v150
	v_addc_co_u32_e64 v165, s[0:1], 0, v151, s[0:1]
	s_movk_i32 s0, 0x3000
	ds_write_b128 v146, v[160:163] offset:6144
	s_waitcnt vmcnt(0) lgkmcnt(1)
	v_mul_f64 v[160:161], v[154:155], v[158:159]
	v_fma_f64 v[160:161], v[152:153], v[156:157], -v[160:161]
	v_mul_f64 v[152:153], v[152:153], v[158:159]
	v_fma_f64 v[162:163], v[154:155], v[156:157], v[152:153]
	global_load_dwordx4 v[156:159], v[164:165], off offset:1024
	ds_read_b128 v[152:155], v146 offset:9216
	ds_write_b128 v146, v[160:163] offset:7680
	s_waitcnt vmcnt(0) lgkmcnt(1)
	v_mul_f64 v[160:161], v[154:155], v[158:159]
	v_fma_f64 v[160:161], v[152:153], v[156:157], -v[160:161]
	v_mul_f64 v[152:153], v[152:153], v[158:159]
	v_fma_f64 v[162:163], v[154:155], v[156:157], v[152:153]
	global_load_dwordx4 v[156:159], v[164:165], off offset:2560
	ds_read_b128 v[152:155], v146 offset:10752
	v_add_co_u32_e64 v164, s[0:1], s0, v150
	v_addc_co_u32_e64 v165, s[0:1], 0, v151, s[0:1]
	s_movk_i32 s0, 0x4000
	ds_write_b128 v146, v[160:163] offset:9216
	s_waitcnt vmcnt(0) lgkmcnt(1)
	v_mul_f64 v[160:161], v[154:155], v[158:159]
	v_fma_f64 v[160:161], v[152:153], v[156:157], -v[160:161]
	v_mul_f64 v[152:153], v[152:153], v[158:159]
	v_fma_f64 v[162:163], v[154:155], v[156:157], v[152:153]
	global_load_dwordx4 v[156:159], v149, s[8:9]
	ds_read_b128 v[152:155], v146 offset:12288
	ds_write_b128 v146, v[160:163] offset:10752
	s_waitcnt vmcnt(0) lgkmcnt(1)
	v_mul_f64 v[160:161], v[154:155], v[158:159]
	v_fma_f64 v[160:161], v[152:153], v[156:157], -v[160:161]
	v_mul_f64 v[152:153], v[152:153], v[158:159]
	v_fma_f64 v[162:163], v[154:155], v[156:157], v[152:153]
	global_load_dwordx4 v[156:159], v[164:165], off offset:1536
	ds_read_b128 v[152:155], v146 offset:13824
	ds_write_b128 v146, v[160:163] offset:12288
	s_waitcnt vmcnt(0) lgkmcnt(1)
	v_mul_f64 v[160:161], v[154:155], v[158:159]
	v_fma_f64 v[160:161], v[152:153], v[156:157], -v[160:161]
	v_mul_f64 v[152:153], v[152:153], v[158:159]
	v_fma_f64 v[162:163], v[154:155], v[156:157], v[152:153]
	global_load_dwordx4 v[156:159], v[164:165], off offset:3072
	ds_read_b128 v[152:155], v146 offset:15360
	v_add_co_u32_e64 v164, s[0:1], s0, v150
	v_addc_co_u32_e64 v165, s[0:1], 0, v151, s[0:1]
	s_movk_i32 s0, 0x5000
	ds_write_b128 v146, v[160:163] offset:13824
	s_waitcnt vmcnt(0) lgkmcnt(1)
	v_mul_f64 v[160:161], v[154:155], v[158:159]
	v_fma_f64 v[160:161], v[152:153], v[156:157], -v[160:161]
	v_mul_f64 v[152:153], v[152:153], v[158:159]
	v_fma_f64 v[162:163], v[154:155], v[156:157], v[152:153]
	global_load_dwordx4 v[156:159], v[164:165], off offset:512
	ds_read_b128 v[152:155], v146 offset:16896
	ds_write_b128 v146, v[160:163] offset:15360
	s_waitcnt vmcnt(0) lgkmcnt(1)
	v_mul_f64 v[160:161], v[154:155], v[158:159]
	v_fma_f64 v[160:161], v[152:153], v[156:157], -v[160:161]
	v_mul_f64 v[152:153], v[152:153], v[158:159]
	v_fma_f64 v[162:163], v[154:155], v[156:157], v[152:153]
	v_or_b32_e32 v156, 0x4800, v146
	global_load_dwordx4 v[156:159], v156, s[8:9]
	ds_read_b128 v[152:155], v146 offset:18432
	ds_write_b128 v146, v[160:163] offset:16896
	s_waitcnt vmcnt(0) lgkmcnt(1)
	v_mul_f64 v[160:161], v[154:155], v[158:159]
	v_fma_f64 v[160:161], v[152:153], v[156:157], -v[160:161]
	v_mul_f64 v[152:153], v[152:153], v[158:159]
	v_fma_f64 v[162:163], v[154:155], v[156:157], v[152:153]
	global_load_dwordx4 v[156:159], v[164:165], off offset:3584
	ds_read_b128 v[152:155], v146 offset:19968
	ds_write_b128 v146, v[160:163] offset:18432
	s_waitcnt vmcnt(0) lgkmcnt(1)
	v_mul_f64 v[160:161], v[154:155], v[158:159]
	v_fma_f64 v[160:161], v[152:153], v[156:157], -v[160:161]
	v_mul_f64 v[152:153], v[152:153], v[158:159]
	v_fma_f64 v[162:163], v[154:155], v[156:157], v[152:153]
	ds_read_b128 v[152:155], v146 offset:21504
	ds_write_b128 v146, v[160:163] offset:19968
	v_add_co_u32_e64 v160, s[0:1], s0, v150
	v_addc_co_u32_e64 v161, s[0:1], 0, v151, s[0:1]
	global_load_dwordx4 v[156:159], v[160:161], off offset:1024
	s_waitcnt vmcnt(0) lgkmcnt(1)
	v_mul_f64 v[150:151], v[154:155], v[158:159]
	v_fma_f64 v[150:151], v[152:153], v[156:157], -v[150:151]
	v_mul_f64 v[152:153], v[152:153], v[158:159]
	v_fma_f64 v[152:153], v[154:155], v[156:157], v[152:153]
	global_load_dwordx4 v[154:157], v[160:161], off offset:2560
	ds_write_b128 v146, v[150:153] offset:21504
	ds_read_b128 v[150:153], v146 offset:23040
	s_waitcnt vmcnt(0) lgkmcnt(0)
	v_mul_f64 v[158:159], v[152:153], v[156:157]
	v_fma_f64 v[158:159], v[150:151], v[154:155], -v[158:159]
	v_mul_f64 v[150:151], v[150:151], v[156:157]
	v_fma_f64 v[160:161], v[152:153], v[154:155], v[150:151]
	ds_write_b128 v146, v[158:161] offset:23040
.LBB0_13:
	s_or_b64 exec, exec, s[2:3]
	s_waitcnt lgkmcnt(0)
	s_barrier
	s_and_saveexec_b64 s[0:1], vcc
	s_cbranch_execz .LBB0_15
; %bb.14:
	ds_read_b128 v[121:124], v146
	ds_read_b128 v[125:128], v146 offset:1536
	ds_read_b128 v[133:136], v146 offset:3072
	;; [unrolled: 1-line block ×15, first 2 shown]
.LBB0_15:
	s_or_b64 exec, exec, s[0:1]
	s_waitcnt lgkmcnt(7)
	v_add_f64 v[101:102], v[121:122], -v[101:102]
	v_add_f64 v[103:104], v[123:124], -v[103:104]
	s_waitcnt lgkmcnt(3)
	v_add_f64 v[113:114], v[141:142], -v[113:114]
	v_add_f64 v[115:116], v[143:144], -v[115:116]
	;; [unrolled: 1-line block ×4, first 2 shown]
	s_waitcnt lgkmcnt(1)
	v_add_f64 v[117:118], v[97:98], -v[117:118]
	v_add_f64 v[119:120], v[99:100], -v[119:120]
	v_fma_f64 v[121:122], v[121:122], 2.0, -v[101:102]
	v_fma_f64 v[123:124], v[123:124], 2.0, -v[103:104]
	;; [unrolled: 1-line block ×8, first 2 shown]
	v_add_f64 v[81:82], v[125:126], -v[81:82]
	v_add_f64 v[83:84], v[127:128], -v[83:84]
	;; [unrolled: 1-line block ×6, first 2 shown]
	s_waitcnt lgkmcnt(0)
	v_add_f64 v[109:110], v[89:90], -v[109:110]
	v_add_f64 v[111:112], v[91:92], -v[111:112]
	;; [unrolled: 1-line block ×4, first 2 shown]
	v_add_f64 v[115:116], v[101:102], v[115:116]
	v_add_f64 v[113:114], v[103:104], -v[113:114]
	v_add_f64 v[97:98], v[133:134], -v[97:98]
	;; [unrolled: 1-line block ×3, first 2 shown]
	v_add_f64 v[119:120], v[119:120], v[93:94]
	v_add_f64 v[117:118], v[95:96], -v[117:118]
	v_fma_f64 v[125:126], v[125:126], 2.0, -v[81:82]
	v_fma_f64 v[127:128], v[127:128], 2.0, -v[83:84]
	;; [unrolled: 1-line block ×16, first 2 shown]
	v_add_f64 v[107:108], v[107:108], v[81:82]
	v_add_f64 v[105:106], v[83:84], -v[105:106]
	v_add_f64 v[111:112], v[111:112], v[85:86]
	v_add_f64 v[109:110], v[87:88], -v[109:110]
	s_mov_b32 s0, 0x667f3bcd
	s_mov_b32 s1, 0xbfe6a09e
	;; [unrolled: 1-line block ×4, first 2 shown]
	v_add_f64 v[137:138], v[125:126], -v[137:138]
	v_add_f64 v[139:140], v[127:128], -v[139:140]
	;; [unrolled: 1-line block ×4, first 2 shown]
	v_fma_f64 v[81:82], v[81:82], 2.0, -v[107:108]
	v_fma_f64 v[83:84], v[83:84], 2.0, -v[105:106]
	;; [unrolled: 1-line block ×4, first 2 shown]
	v_fma_f64 v[150:151], v[93:94], s[0:1], v[101:102]
	v_fma_f64 v[152:153], v[95:96], s[0:1], v[103:104]
	v_add_f64 v[154:155], v[121:122], -v[133:134]
	v_add_f64 v[156:157], v[123:124], -v[135:136]
	v_fma_f64 v[133:134], v[119:120], s[2:3], v[115:116]
	v_fma_f64 v[135:136], v[117:118], s[2:3], v[113:114]
	v_fma_f64 v[125:126], v[125:126], 2.0, -v[137:138]
	v_fma_f64 v[127:128], v[127:128], 2.0, -v[139:140]
	;; [unrolled: 1-line block ×4, first 2 shown]
	v_fma_f64 v[150:151], v[95:96], s[2:3], v[150:151]
	v_fma_f64 v[152:153], v[93:94], s[0:1], v[152:153]
	v_add_f64 v[158:159], v[141:142], v[99:100]
	v_add_f64 v[160:161], v[143:144], -v[97:98]
	v_fma_f64 v[93:94], v[121:122], 2.0, -v[154:155]
	v_fma_f64 v[95:96], v[123:124], 2.0, -v[156:157]
	v_fma_f64 v[117:118], v[117:118], s[2:3], v[133:134]
	v_fma_f64 v[119:120], v[119:120], s[0:1], v[135:136]
	;; [unrolled: 1-line block ×4, first 2 shown]
	v_fma_f64 v[97:98], v[101:102], 2.0, -v[150:151]
	v_fma_f64 v[99:100], v[103:104], 2.0, -v[152:153]
	;; [unrolled: 1-line block ×6, first 2 shown]
	v_fma_f64 v[113:114], v[111:112], s[2:3], v[107:108]
	v_fma_f64 v[115:116], v[109:110], s[2:3], v[105:106]
	v_add_f64 v[129:130], v[125:126], -v[129:130]
	v_add_f64 v[131:132], v[127:128], -v[131:132]
	v_fma_f64 v[141:142], v[87:88], s[2:3], v[121:122]
	v_fma_f64 v[143:144], v[85:86], s[0:1], v[123:124]
	v_add_f64 v[162:163], v[91:92], v[137:138]
	v_add_f64 v[164:165], v[139:140], -v[89:90]
	v_fma_f64 v[109:110], v[109:110], s[2:3], v[113:114]
	v_fma_f64 v[111:112], v[111:112], s[0:1], v[115:116]
	v_fma_f64 v[85:86], v[125:126], 2.0, -v[129:130]
	v_fma_f64 v[87:88], v[127:128], 2.0, -v[131:132]
	;; [unrolled: 1-line block ×4, first 2 shown]
	s_mov_b32 s8, 0xcf328d46
	s_mov_b32 s9, 0xbfed906b
	v_fma_f64 v[113:114], v[137:138], 2.0, -v[162:163]
	v_fma_f64 v[115:116], v[139:140], 2.0, -v[164:165]
	;; [unrolled: 1-line block ×4, first 2 shown]
	v_add_f64 v[89:90], v[93:94], -v[85:86]
	v_add_f64 v[91:92], v[95:96], -v[87:88]
	v_fma_f64 v[85:86], v[81:82], s[8:9], v[97:98]
	v_fma_f64 v[87:88], v[83:84], s[8:9], v[99:100]
	s_mov_b32 s10, 0xa6aea964
	s_mov_b32 s11, 0x3fd87de2
	s_mov_b32 s17, 0xbfd87de2
	s_mov_b32 s16, s10
	v_fma_f64 v[125:126], v[113:114], s[0:1], v[101:102]
	v_fma_f64 v[127:128], v[115:116], s[0:1], v[103:104]
	;; [unrolled: 1-line block ×6, first 2 shown]
	s_mov_b32 s18, s8
	v_fma_f64 v[166:167], v[109:110], s[18:19], v[117:118]
	v_fma_f64 v[125:126], v[115:116], s[2:3], v[125:126]
	;; [unrolled: 1-line block ×5, first 2 shown]
	v_fma_f64 v[85:86], v[97:98], 2.0, -v[105:106]
	v_fma_f64 v[87:88], v[99:100], 2.0, -v[107:108]
	v_fma_f64 v[97:98], v[141:142], s[10:11], v[150:151]
	v_fma_f64 v[99:100], v[143:144], s[10:11], v[152:153]
	;; [unrolled: 1-line block ×5, first 2 shown]
	v_fma_f64 v[81:82], v[93:94], 2.0, -v[89:90]
	v_fma_f64 v[83:84], v[95:96], 2.0, -v[91:92]
	;; [unrolled: 1-line block ×4, first 2 shown]
	v_add_f64 v[121:122], v[154:155], v[131:132]
	v_add_f64 v[123:124], v[156:157], -v[129:130]
	v_fma_f64 v[133:134], v[143:144], s[18:19], v[97:98]
	v_fma_f64 v[135:136], v[141:142], s[8:9], v[99:100]
	;; [unrolled: 1-line block ×6, first 2 shown]
	v_fma_f64 v[101:102], v[101:102], 2.0, -v[125:126]
	v_fma_f64 v[103:104], v[103:104], 2.0, -v[127:128]
	v_fma_f64 v[97:98], v[154:155], 2.0, -v[121:122]
	v_fma_f64 v[99:100], v[156:157], 2.0, -v[123:124]
	v_fma_f64 v[109:110], v[150:151], 2.0, -v[133:134]
	v_fma_f64 v[111:112], v[152:153], 2.0, -v[135:136]
	v_fma_f64 v[129:130], v[158:159], 2.0, -v[141:142]
	v_fma_f64 v[131:132], v[160:161], 2.0, -v[143:144]
	v_fma_f64 v[117:118], v[117:118], 2.0, -v[137:138]
	v_fma_f64 v[119:120], v[119:120], 2.0, -v[139:140]
	s_barrier
	s_and_saveexec_b64 s[0:1], vcc
	s_cbranch_execz .LBB0_17
; %bb.16:
	ds_write_b128 v148, v[81:84]
	ds_write_b128 v148, v[85:88] offset:16
	ds_write_b128 v148, v[101:104] offset:32
	;; [unrolled: 1-line block ×15, first 2 shown]
.LBB0_17:
	s_or_b64 exec, exec, s[0:1]
	s_waitcnt lgkmcnt(0)
	s_barrier
	s_and_saveexec_b64 s[0:1], vcc
	s_cbranch_execz .LBB0_19
; %bb.18:
	ds_read_b128 v[81:84], v146
	ds_read_b128 v[85:88], v146 offset:1536
	ds_read_b128 v[101:104], v146 offset:3072
	;; [unrolled: 1-line block ×15, first 2 shown]
.LBB0_19:
	s_or_b64 exec, exec, s[0:1]
	s_waitcnt lgkmcnt(0)
	s_barrier
	s_and_saveexec_b64 s[0:1], vcc
	s_cbranch_execz .LBB0_21
; %bb.20:
	v_mul_f64 v[150:151], v[19:20], v[101:102]
	v_mul_f64 v[152:153], v[43:44], v[125:126]
	;; [unrolled: 1-line block ×8, first 2 shown]
	v_fma_f64 v[150:151], v[17:18], v[103:104], -v[150:151]
	v_fma_f64 v[152:153], v[41:42], v[127:128], -v[152:153]
	v_fma_f64 v[154:155], v[33:34], v[129:130], v[154:155]
	v_fma_f64 v[156:157], v[57:58], v[141:142], v[156:157]
	v_fma_f64 v[158:159], v[13:14], v[91:92], -v[158:159]
	v_fma_f64 v[160:161], v[1:2], v[97:98], v[160:161]
	v_fma_f64 v[162:163], v[45:46], v[121:122], v[162:163]
	v_mul_f64 v[59:60], v[59:60], v[141:142]
	v_mul_f64 v[164:165], v[27:28], v[119:120]
	v_add_f64 v[129:130], v[150:151], -v[152:153]
	v_mul_f64 v[166:167], v[55:56], v[139:140]
	v_add_f64 v[152:153], v[154:155], -v[156:157]
	v_add_f64 v[141:142], v[83:84], -v[158:159]
	v_mul_f64 v[158:159], v[11:12], v[93:94]
	v_add_f64 v[156:157], v[160:161], -v[162:163]
	v_mul_f64 v[162:163], v[39:40], v[113:114]
	v_fma_f64 v[33:34], v[33:34], v[131:132], -v[35:36]
	v_fma_f64 v[35:36], v[57:58], v[143:144], -v[59:60]
	v_mul_f64 v[19:20], v[19:20], v[103:104]
	v_mul_f64 v[43:44], v[43:44], v[127:128]
	v_fma_f64 v[103:104], v[25:26], v[117:118], v[164:165]
	v_fma_f64 v[57:58], v[9:10], v[95:96], -v[158:159]
	v_fma_f64 v[127:128], v[53:54], v[137:138], v[166:167]
	v_fma_f64 v[59:60], v[37:38], v[115:116], -v[162:163]
	v_mul_f64 v[131:132], v[7:8], v[85:86]
	v_mul_f64 v[143:144], v[31:32], v[105:106]
	;; [unrolled: 1-line block ×4, first 2 shown]
	v_fma_f64 v[17:18], v[17:18], v[101:102], v[19:20]
	v_fma_f64 v[19:20], v[41:42], v[125:126], v[43:44]
	v_add_f64 v[43:44], v[103:104], -v[127:128]
	v_add_f64 v[41:42], v[57:58], -v[59:60]
	v_fma_f64 v[59:60], v[5:6], v[87:88], -v[131:132]
	v_fma_f64 v[101:102], v[29:30], v[107:108], -v[143:144]
	v_fma_f64 v[125:126], v[21:22], v[109:110], v[158:159]
	v_fma_f64 v[127:128], v[49:50], v[133:134], v[162:163]
	v_mul_f64 v[27:28], v[27:28], v[117:118]
	v_mul_f64 v[55:56], v[55:56], v[137:138]
	;; [unrolled: 1-line block ×8, first 2 shown]
	v_add_f64 v[101:102], v[59:60], -v[101:102]
	v_add_f64 v[127:128], v[125:126], -v[127:128]
	v_fma_f64 v[25:26], v[25:26], v[119:120], -v[27:28]
	v_fma_f64 v[27:28], v[53:54], v[139:140], -v[55:56]
	v_fma_f64 v[9:10], v[9:10], v[93:94], v[11:12]
	v_fma_f64 v[11:12], v[37:38], v[113:114], v[39:40]
	v_fma_f64 v[21:22], v[21:22], v[111:112], -v[23:24]
	v_fma_f64 v[23:24], v[49:50], v[135:136], -v[51:52]
	v_fma_f64 v[5:6], v[5:6], v[85:86], v[7:8]
	v_fma_f64 v[7:8], v[29:30], v[105:106], v[31:32]
	v_add_f64 v[131:132], v[129:130], -v[152:153]
	v_add_f64 v[143:144], v[141:142], -v[156:157]
	;; [unrolled: 1-line block ×5, first 2 shown]
	v_mul_f64 v[3:4], v[3:4], v[97:98]
	v_mul_f64 v[29:30], v[47:48], v[121:122]
	;; [unrolled: 1-line block ×3, first 2 shown]
	v_add_f64 v[31:32], v[101:102], -v[127:128]
	v_add_f64 v[27:28], v[25:26], -v[27:28]
	;; [unrolled: 1-line block ×5, first 2 shown]
	s_mov_b32 s2, 0x667f3bcd
	s_mov_b32 s3, 0x3fe6a09e
	v_fma_f64 v[1:2], v[1:2], v[99:100], -v[3:4]
	v_fma_f64 v[3:4], v[45:46], v[123:124], -v[29:30]
	v_fma_f64 v[7:8], v[13:14], v[89:90], v[15:16]
	v_fma_f64 v[13:14], v[131:132], s[2:3], v[143:144]
	v_add_f64 v[15:16], v[35:36], v[19:20]
	v_fma_f64 v[29:30], v[158:159], s[2:3], v[31:32]
	v_add_f64 v[39:40], v[27:28], v[11:12]
	v_add_f64 v[45:46], v[23:24], v[37:38]
	s_mov_b32 s9, 0xbfe6a09e
	s_mov_b32 s8, s2
	v_add_f64 v[3:4], v[1:2], -v[3:4]
	v_add_f64 v[47:48], v[81:82], -v[7:8]
	v_fma_f64 v[49:50], v[15:16], s[8:9], v[13:14]
	s_mov_b32 s10, 0xcf328d46
	v_fma_f64 v[29:30], v[39:40], s[8:9], v[29:30]
	v_fma_f64 v[7:8], v[39:40], s[2:3], v[45:46]
	s_mov_b32 s11, 0x3fed906b
	v_fma_f64 v[55:56], v[83:84], 2.0, -v[141:142]
	v_fma_f64 v[1:2], v[1:2], 2.0, -v[3:4]
	v_add_f64 v[51:52], v[47:48], v[3:4]
	v_fma_f64 v[17:18], v[17:18], 2.0, -v[19:20]
	v_fma_f64 v[83:84], v[154:155], 2.0, -v[152:153]
	v_fma_f64 v[13:14], v[29:30], s[10:11], v[49:50]
	v_fma_f64 v[53:54], v[158:159], s[2:3], v[7:8]
	v_fma_f64 v[59:60], v[59:60], 2.0, -v[101:102]
	v_fma_f64 v[21:22], v[21:22], 2.0, -v[23:24]
	v_fma_f64 v[9:10], v[9:10], 2.0, -v[11:12]
	v_fma_f64 v[23:24], v[103:104], 2.0, -v[43:44]
	s_mov_b32 s16, 0xa6aea964
	s_mov_b32 s17, 0xbfd87de2
	v_fma_f64 v[7:8], v[15:16], s[2:3], v[51:52]
	v_fma_f64 v[3:4], v[53:54], s[16:17], v[13:14]
	v_add_f64 v[85:86], v[55:56], -v[1:2]
	v_add_f64 v[13:14], v[17:18], -v[83:84]
	v_add_f64 v[83:84], v[59:60], -v[21:22]
	v_add_f64 v[1:2], v[9:10], -v[23:24]
	v_fma_f64 v[23:24], v[57:58], 2.0, -v[41:42]
	v_fma_f64 v[25:26], v[25:26], 2.0, -v[27:28]
	;; [unrolled: 1-line block ×16, first 2 shown]
	v_fma_f64 v[43:44], v[131:132], s[2:3], v[7:8]
	v_add_f64 v[87:88], v[85:86], -v[13:14]
	v_add_f64 v[89:90], v[83:84], -v[1:2]
	;; [unrolled: 1-line block ×6, first 2 shown]
	v_fma_f64 v[47:48], v[93:94], s[8:9], v[91:92]
	v_fma_f64 v[81:82], v[19:20], s[8:9], v[95:96]
	;; [unrolled: 1-line block ×6, first 2 shown]
	v_add_f64 v[103:104], v[25:26], v[41:42]
	v_add_f64 v[105:106], v[33:34], v[27:28]
	v_fma_f64 v[47:48], v[15:16], s[8:9], v[47:48]
	v_fma_f64 v[81:82], v[11:12], s[8:9], v[81:82]
	;; [unrolled: 1-line block ×4, first 2 shown]
	v_fma_f64 v[15:16], v[57:58], 2.0, -v[27:28]
	v_fma_f64 v[57:58], v[5:6], 2.0, -v[41:42]
	;; [unrolled: 1-line block ×3, first 2 shown]
	s_mov_b32 s19, 0x3fd87de2
	s_mov_b32 s18, s16
	v_fma_f64 v[55:56], v[55:56], 2.0, -v[85:86]
	v_fma_f64 v[1:2], v[29:30], s[18:19], v[21:22]
	v_fma_f64 v[11:12], v[103:104], s[8:9], v[101:102]
	;; [unrolled: 1-line block ×4, first 2 shown]
	v_add_f64 v[101:102], v[57:58], -v[5:6]
	v_fma_f64 v[35:36], v[35:36], 2.0, -v[33:34]
	v_fma_f64 v[5:6], v[17:18], 2.0, -v[13:14]
	;; [unrolled: 1-line block ×4, first 2 shown]
	v_fma_f64 v[9:10], v[103:104], s[2:3], v[105:106]
	s_mov_b32 s21, 0xbfed906b
	s_mov_b32 s20, s10
	v_fma_f64 v[7:8], v[49:50], 2.0, -v[3:4]
	v_add_f64 v[99:100], v[55:56], -v[15:16]
	v_fma_f64 v[15:16], v[97:98], s[20:21], v[19:20]
	v_fma_f64 v[13:14], v[81:82], s[10:11], v[21:22]
	v_add_f64 v[107:108], v[35:36], -v[5:6]
	v_add_f64 v[109:110], v[59:60], -v[17:18]
	v_fma_f64 v[49:50], v[143:144], 2.0, -v[49:50]
	v_fma_f64 v[29:30], v[31:32], 2.0, -v[29:30]
	;; [unrolled: 1-line block ×12, first 2 shown]
	v_fma_f64 v[9:10], v[89:90], s[2:3], v[9:10]
	v_fma_f64 v[89:90], v[51:52], 2.0, -v[43:44]
	v_fma_f64 v[27:28], v[47:48], 2.0, -v[15:16]
	;; [unrolled: 1-line block ×3, first 2 shown]
	v_fma_f64 v[111:112], v[29:30], s[16:17], v[49:50]
	v_fma_f64 v[93:94], v[55:56], 2.0, -v[99:100]
	v_fma_f64 v[47:48], v[59:60], 2.0, -v[109:110]
	;; [unrolled: 1-line block ×5, first 2 shown]
	v_fma_f64 v[33:34], v[83:84], s[8:9], v[85:86]
	v_fma_f64 v[43:44], v[81:82], s[20:21], v[87:88]
	;; [unrolled: 1-line block ×6, first 2 shown]
	v_add_f64 v[47:48], v[93:94], -v[47:48]
	v_add_f64 v[45:46], v[95:96], -v[51:52]
	v_fma_f64 v[39:40], v[41:42], s[8:9], v[33:34]
	v_fma_f64 v[43:44], v[37:38], s[16:17], v[43:44]
	;; [unrolled: 1-line block ×5, first 2 shown]
	v_add_f64 v[19:20], v[99:100], -v[101:102]
	v_add_f64 v[17:18], v[107:108], v[109:110]
	v_fma_f64 v[83:84], v[93:94], 2.0, -v[47:48]
	v_fma_f64 v[81:82], v[95:96], 2.0, -v[45:46]
	;; [unrolled: 1-line block ×10, first 2 shown]
	s_movk_i32 s2, 0x700
	v_fma_f64 v[21:22], v[105:106], 2.0, -v[9:10]
	v_and_or_b32 v85, v146, s2, v147
	v_lshlrev_b32_e32 v85, 4, v85
	ds_write_b128 v85, v[81:84]
	ds_write_b128 v85, v[57:60] offset:256
	ds_write_b128 v85, v[53:56] offset:512
	;; [unrolled: 1-line block ×15, first 2 shown]
.LBB0_21:
	s_or_b64 exec, exec, s[0:1]
	s_waitcnt lgkmcnt(0)
	s_barrier
	ds_read_b128 v[1:4], v146 offset:8192
	ds_read_b128 v[5:8], v146 offset:16384
	;; [unrolled: 1-line block ×4, first 2 shown]
	ds_read_b128 v[17:20], v146
	ds_read_b128 v[21:24], v146 offset:4096
	s_waitcnt lgkmcnt(5)
	v_mul_f64 v[25:26], v[71:72], v[3:4]
	s_waitcnt lgkmcnt(4)
	v_mul_f64 v[27:28], v[79:80], v[7:8]
	v_mul_f64 v[29:30], v[71:72], v[1:2]
	s_waitcnt lgkmcnt(3)
	v_mul_f64 v[31:32], v[67:68], v[9:10]
	s_waitcnt lgkmcnt(0)
	v_mul_f64 v[33:34], v[63:64], v[21:22]
	s_mov_b32 s0, 0xe8584caa
	s_mov_b32 s1, 0xbfebb67a
	;; [unrolled: 1-line block ×3, first 2 shown]
	v_fma_f64 v[1:2], v[69:70], v[1:2], v[25:26]
	v_fma_f64 v[25:26], v[77:78], v[5:6], v[27:28]
	v_mul_f64 v[5:6], v[79:80], v[5:6]
	v_mul_f64 v[27:28], v[75:76], v[13:14]
	v_fma_f64 v[3:4], v[69:70], v[3:4], -v[29:30]
	v_mul_f64 v[29:30], v[67:68], v[11:12]
	v_fma_f64 v[11:12], v[65:66], v[11:12], -v[31:32]
	v_mul_f64 v[31:32], v[75:76], v[15:16]
	s_mov_b32 s2, s0
	v_add_f64 v[35:36], v[1:2], v[25:26]
	v_fma_f64 v[5:6], v[77:78], v[7:8], -v[5:6]
	v_fma_f64 v[7:8], v[73:74], v[15:16], -v[27:28]
	v_mul_f64 v[15:16], v[63:64], v[23:24]
	v_fma_f64 v[23:24], v[61:62], v[23:24], -v[33:34]
	v_add_f64 v[27:28], v[17:18], v[1:2]
	v_fma_f64 v[9:10], v[65:66], v[9:10], v[29:30]
	v_fma_f64 v[13:14], v[73:74], v[13:14], v[31:32]
	v_fma_f64 v[17:18], v[35:36], -0.5, v[17:18]
	v_add_f64 v[29:30], v[3:4], -v[5:6]
	v_add_f64 v[31:32], v[11:12], v[7:8]
	v_fma_f64 v[15:16], v[61:62], v[21:22], v[15:16]
	v_add_f64 v[37:38], v[19:20], v[3:4]
	v_add_f64 v[21:22], v[27:28], v[25:26]
	;; [unrolled: 1-line block ×4, first 2 shown]
	v_add_f64 v[35:36], v[9:10], -v[13:14]
	v_fma_f64 v[33:34], v[29:30], s[0:1], v[17:18]
	v_fma_f64 v[31:32], v[31:32], -0.5, v[23:24]
	v_add_f64 v[39:40], v[11:12], -v[7:8]
	v_fma_f64 v[29:30], v[29:30], s[2:3], v[17:18]
	v_add_f64 v[11:12], v[23:24], v[11:12]
	v_fma_f64 v[3:4], v[3:4], -0.5, v[19:20]
	v_fma_f64 v[27:28], v[27:28], -0.5, v[15:16]
	v_add_f64 v[1:2], v[1:2], -v[25:26]
	v_fma_f64 v[17:18], v[35:36], s[2:3], v[31:32]
	v_fma_f64 v[31:32], v[35:36], s[0:1], v[31:32]
	v_add_f64 v[35:36], v[37:38], v[5:6]
	v_add_f64 v[5:6], v[15:16], v[9:10]
	;; [unrolled: 1-line block ×3, first 2 shown]
	v_fma_f64 v[9:10], v[39:40], s[0:1], v[27:28]
	v_fma_f64 v[15:16], v[39:40], s[2:3], v[27:28]
	;; [unrolled: 1-line block ×3, first 2 shown]
	v_mul_f64 v[19:20], v[17:18], s[0:1]
	v_mul_f64 v[17:18], v[17:18], 0.5
	v_mul_f64 v[25:26], v[31:32], s[0:1]
	v_mul_f64 v[23:24], v[31:32], -0.5
	v_add_f64 v[13:14], v[5:6], v[13:14]
	v_fma_f64 v[31:32], v[1:2], s[0:1], v[3:4]
	v_add_f64 v[3:4], v[35:36], v[37:38]
	v_fma_f64 v[19:20], v[9:10], 0.5, v[19:20]
	v_fma_f64 v[39:40], v[9:10], s[2:3], v[17:18]
	v_fma_f64 v[25:26], v[15:16], -0.5, v[25:26]
	v_fma_f64 v[23:24], v[15:16], s[2:3], v[23:24]
	v_add_f64 v[1:2], v[21:22], v[13:14]
	v_add_f64 v[13:14], v[21:22], -v[13:14]
	v_add_f64 v[15:16], v[35:36], -v[37:38]
	v_add_f64 v[5:6], v[33:34], v[19:20]
	v_add_f64 v[7:8], v[27:28], v[39:40]
	;; [unrolled: 1-line block ×4, first 2 shown]
	v_add_f64 v[17:18], v[33:34], -v[19:20]
	v_add_f64 v[19:20], v[27:28], -v[39:40]
	;; [unrolled: 1-line block ×4, first 2 shown]
	ds_write_b128 v146, v[1:4]
	ds_write_b128 v146, v[5:8] offset:4096
	ds_write_b128 v146, v[9:12] offset:8192
	ds_write_b128 v146, v[13:16] offset:12288
	ds_write_b128 v146, v[17:20] offset:16384
	ds_write_b128 v146, v[21:24] offset:20480
	s_waitcnt lgkmcnt(0)
	s_barrier
	s_and_b64 exec, exec, vcc
	s_cbranch_execz .LBB0_23
; %bb.22:
	global_load_dwordx4 v[3:6], v146, s[12:13]
	global_load_dwordx4 v[7:10], v146, s[12:13] offset:1536
	global_load_dwordx4 v[11:14], v146, s[12:13] offset:3072
	v_mov_b32_e32 v2, s13
	v_add_co_u32_e32 v1, vcc, s12, v146
	v_addc_co_u32_e32 v2, vcc, 0, v2, vcc
	s_movk_i32 s0, 0x1000
	v_add_co_u32_e32 v51, vcc, s0, v1
	v_addc_co_u32_e32 v52, vcc, 0, v2, vcc
	global_load_dwordx4 v[15:18], v[51:52], off offset:512
	v_or_b32_e32 v81, 0x180, v0
	v_lshlrev_b32_e32 v27, 4, v81
	ds_read_b128 v[19:22], v146
	ds_read_b128 v[23:26], v146 offset:1536
	global_load_dwordx4 v[27:30], v27, s[12:13]
	ds_read_b128 v[31:34], v146 offset:3072
	ds_read_b128 v[35:38], v146 offset:4608
	;; [unrolled: 1-line block ×4, first 2 shown]
	global_load_dwordx4 v[47:50], v149, s[12:13]
	s_movk_i32 s8, 0x2000
	global_load_dwordx4 v[51:54], v[51:52], off offset:3584
	v_add_co_u32_e32 v71, vcc, s8, v1
	v_addc_co_u32_e32 v72, vcc, 0, v2, vcc
	global_load_dwordx4 v[55:58], v[71:72], off offset:1024
	v_mad_u64_u32 v[67:68], s[0:1], s6, v145, 0
	v_mad_u64_u32 v[69:70], s[2:3], s4, v0, 0
	s_mul_i32 s3, s5, 0x600
	s_mul_hi_u32 s6, s4, 0x600
	v_mov_b32_e32 v59, v68
	v_mov_b32_e32 v60, v70
	s_add_i32 s3, s6, s3
	v_mad_u64_u32 v[75:76], s[6:7], s7, v145, v[59:60]
	s_movk_i32 s9, 0x3000
	v_add_co_u32_e32 v73, vcc, s9, v1
	v_mad_u64_u32 v[76:77], s[6:7], s5, v0, v[60:61]
	v_addc_co_u32_e32 v74, vcc, 0, v2, vcc
	global_load_dwordx4 v[59:62], v[71:72], off offset:2560
	global_load_dwordx4 v[63:66], v[73:74], off offset:1536
	v_mov_b32_e32 v68, v75
	v_lshlrev_b64 v[67:68], 4, v[67:68]
	v_mov_b32_e32 v78, s15
	v_mov_b32_e32 v70, v76
	v_add_co_u32_e32 v84, vcc, s14, v67
	v_addc_co_u32_e32 v85, vcc, v78, v68, vcc
	s_mov_b32 s0, 0x55555555
	v_lshlrev_b64 v[69:70], 4, v[69:70]
	s_mov_b32 s1, 0x3f455555
	v_add_co_u32_e32 v67, vcc, v84, v69
	s_mul_i32 s2, s4, 0x600
	v_addc_co_u32_e32 v68, vcc, v85, v70, vcc
	v_mov_b32_e32 v79, s3
	v_add_co_u32_e32 v69, vcc, s2, v67
	v_addc_co_u32_e32 v70, vcc, v68, v79, vcc
	v_mov_b32_e32 v82, s3
	v_mov_b32_e32 v83, s3
	s_mul_i32 s8, s5, 0xc00
	s_waitcnt vmcnt(9) lgkmcnt(5)
	v_mul_f64 v[71:72], v[21:22], v[5:6]
	v_mul_f64 v[5:6], v[19:20], v[5:6]
	s_waitcnt vmcnt(8) lgkmcnt(4)
	v_mul_f64 v[75:76], v[25:26], v[9:10]
	v_mul_f64 v[9:10], v[23:24], v[9:10]
	;; [unrolled: 3-line block ×3, first 2 shown]
	v_fma_f64 v[19:20], v[19:20], v[3:4], v[71:72]
	v_fma_f64 v[5:6], v[3:4], v[21:22], -v[5:6]
	v_fma_f64 v[21:22], v[23:24], v[7:8], v[75:76]
	v_fma_f64 v[9:10], v[7:8], v[25:26], -v[9:10]
	;; [unrolled: 2-line block ×3, first 2 shown]
	s_waitcnt vmcnt(6) lgkmcnt(2)
	v_mul_f64 v[79:80], v[37:38], v[17:18]
	v_mul_f64 v[17:18], v[35:36], v[17:18]
	;; [unrolled: 1-line block ×8, first 2 shown]
	v_add_co_u32_e32 v19, vcc, s2, v69
	v_addc_co_u32_e32 v20, vcc, v70, v82, vcc
	global_store_dwordx4 v[67:68], v[3:6], off
	global_store_dwordx4 v[69:70], v[7:10], off
	;; [unrolled: 1-line block ×3, first 2 shown]
	s_waitcnt vmcnt(8) lgkmcnt(1)
	v_mul_f64 v[7:8], v[41:42], v[29:30]
	v_mul_f64 v[9:10], v[39:40], v[29:30]
	global_load_dwordx4 v[3:6], v[73:74], off offset:3072
	v_fma_f64 v[25:26], v[35:36], v[15:16], v[79:80]
	v_fma_f64 v[17:18], v[15:16], v[37:38], -v[17:18]
	v_mad_u64_u32 v[21:22], s[6:7], s4, v81, 0
	v_add_co_u32_e32 v31, vcc, s2, v19
	v_addc_co_u32_e32 v32, vcc, v20, v83, vcc
	v_fma_f64 v[11:12], v[39:40], v[27:28], v[7:8]
	v_fma_f64 v[13:14], v[27:28], v[41:42], -v[9:10]
	s_movk_i32 s6, 0x4000
	v_add_co_u32_e32 v27, vcc, s6, v1
	v_addc_co_u32_e32 v28, vcc, 0, v2, vcc
	global_load_dwordx4 v[7:10], v[27:28], off offset:512
	v_mul_f64 v[15:16], v[25:26], s[0:1]
	v_mul_f64 v[17:18], v[17:18], s[0:1]
	v_mov_b32_e32 v19, v22
	s_waitcnt vmcnt(8) lgkmcnt(0)
	v_mul_f64 v[23:24], v[45:46], v[53:54]
	v_mad_u64_u32 v[19:20], s[6:7], s5, v81, v[19:20]
	v_mul_f64 v[11:12], v[11:12], s[0:1]
	v_mul_f64 v[13:14], v[13:14], s[0:1]
	v_mov_b32_e32 v22, v19
	global_store_dwordx4 v[31:32], v[15:18], off
	ds_read_b128 v[15:18], v146 offset:9216
	v_lshlrev_b64 v[19:20], 4, v[21:22]
	v_fma_f64 v[23:24], v[43:44], v[51:52], v[23:24]
	v_add_co_u32_e32 v19, vcc, v84, v19
	v_addc_co_u32_e32 v20, vcc, v85, v20, vcc
	global_store_dwordx4 v[19:20], v[11:14], off
	ds_read_b128 v[11:14], v146 offset:10752
	s_waitcnt vmcnt(9) lgkmcnt(1)
	v_mul_f64 v[29:30], v[17:18], v[57:58]
	v_or_b32_e32 v41, 0x480, v0
	v_lshlrev_b32_e32 v0, 4, v41
	v_mul_f64 v[19:20], v[23:24], s[0:1]
	global_load_dwordx4 v[23:26], v0, s[12:13]
	v_mul_f64 v[21:22], v[43:44], v[53:54]
	v_mul_f64 v[33:34], v[15:16], v[57:58]
	v_mov_b32_e32 v42, 0xc00
	v_fma_f64 v[15:16], v[15:16], v[55:56], v[29:30]
	global_load_dwordx4 v[27:30], v[27:28], off offset:3584
	v_mad_u64_u32 v[31:32], s[6:7], s4, v42, v[31:32]
	s_waitcnt vmcnt(10) lgkmcnt(0)
	v_mul_f64 v[35:36], v[11:12], v[61:62]
	v_fma_f64 v[21:22], v[51:52], v[45:46], -v[21:22]
	v_fma_f64 v[17:18], v[55:56], v[17:18], -v[33:34]
	v_mul_f64 v[33:34], v[13:14], v[61:62]
	v_add_u32_e32 v32, s8, v32
	v_mul_f64 v[15:16], v[15:16], s[0:1]
	v_mov_b32_e32 v0, s3
	v_fma_f64 v[35:36], v[59:60], v[13:14], -v[35:36]
	v_mul_f64 v[21:22], v[21:22], s[0:1]
	v_mul_f64 v[17:18], v[17:18], s[0:1]
	v_fma_f64 v[33:34], v[11:12], v[59:60], v[33:34]
	ds_read_b128 v[11:14], v146 offset:13824
	global_store_dwordx4 v[31:32], v[19:22], off
	ds_read_b128 v[19:22], v146 offset:12288
	v_add_co_u32_e32 v31, vcc, s2, v31
	v_addc_co_u32_e32 v32, vcc, v32, v0, vcc
	s_waitcnt lgkmcnt(0)
	v_mul_f64 v[37:38], v[21:22], v[49:50]
	v_mul_f64 v[39:40], v[19:20], v[49:50]
	global_store_dwordx4 v[31:32], v[15:18], off
	v_add_co_u32_e32 v31, vcc, s2, v31
	v_mul_f64 v[15:16], v[33:34], s[0:1]
	v_mul_f64 v[17:18], v[35:36], s[0:1]
	s_waitcnt vmcnt(11)
	v_mul_f64 v[33:34], v[13:14], v[65:66]
	v_fma_f64 v[19:20], v[19:20], v[47:48], v[37:38]
	v_fma_f64 v[21:22], v[47:48], v[21:22], -v[39:40]
	v_mul_f64 v[35:36], v[11:12], v[65:66]
	v_addc_co_u32_e32 v32, vcc, v32, v0, vcc
	global_store_dwordx4 v[31:32], v[15:18], off
	v_fma_f64 v[33:34], v[11:12], v[63:64], v[33:34]
	v_mul_f64 v[15:16], v[19:20], s[0:1]
	v_mul_f64 v[17:18], v[21:22], s[0:1]
	ds_read_b128 v[19:22], v146 offset:15360
	v_fma_f64 v[35:36], v[63:64], v[13:14], -v[35:36]
	ds_read_b128 v[11:14], v146 offset:16896
	v_add_co_u32_e32 v31, vcc, s2, v31
	s_waitcnt vmcnt(8) lgkmcnt(1)
	v_mul_f64 v[37:38], v[21:22], v[5:6]
	v_mul_f64 v[5:6], v[19:20], v[5:6]
	v_addc_co_u32_e32 v32, vcc, v32, v0, vcc
	global_store_dwordx4 v[31:32], v[15:18], off
	v_add_co_u32_e32 v31, vcc, s2, v31
	v_mul_f64 v[15:16], v[33:34], s[0:1]
	v_fma_f64 v[19:20], v[19:20], v[3:4], v[37:38]
	v_fma_f64 v[5:6], v[3:4], v[21:22], -v[5:6]
	s_waitcnt vmcnt(8) lgkmcnt(0)
	v_mul_f64 v[21:22], v[13:14], v[9:10]
	v_mul_f64 v[17:18], v[35:36], s[0:1]
	;; [unrolled: 1-line block ×3, first 2 shown]
	v_addc_co_u32_e32 v32, vcc, v32, v0, vcc
	v_mul_f64 v[3:4], v[19:20], s[0:1]
	v_mul_f64 v[5:6], v[5:6], s[0:1]
	v_fma_f64 v[11:12], v[11:12], v[7:8], v[21:22]
	global_store_dwordx4 v[31:32], v[15:18], off
	v_fma_f64 v[9:10], v[7:8], v[13:14], -v[9:10]
	v_add_co_u32_e32 v15, vcc, s2, v31
	v_addc_co_u32_e32 v16, vcc, v32, v0, vcc
	global_store_dwordx4 v[15:16], v[3:6], off
	ds_read_b128 v[3:6], v146 offset:18432
	v_mul_f64 v[7:8], v[11:12], s[0:1]
	ds_read_b128 v[11:14], v146 offset:19968
	v_mul_f64 v[9:10], v[9:10], s[0:1]
	v_mad_u64_u32 v[21:22], s[6:7], s4, v41, 0
	s_waitcnt vmcnt(7) lgkmcnt(1)
	v_mul_f64 v[17:18], v[5:6], v[25:26]
	v_mul_f64 v[19:20], v[3:4], v[25:26]
	s_waitcnt vmcnt(6) lgkmcnt(0)
	v_mul_f64 v[25:26], v[13:14], v[29:30]
	v_mul_f64 v[29:30], v[11:12], v[29:30]
	v_add_co_u32_e32 v15, vcc, s2, v15
	v_addc_co_u32_e32 v16, vcc, v16, v0, vcc
	v_fma_f64 v[3:4], v[3:4], v[23:24], v[17:18]
	v_fma_f64 v[5:6], v[23:24], v[5:6], -v[19:20]
	v_fma_f64 v[11:12], v[11:12], v[27:28], v[25:26]
	v_fma_f64 v[13:14], v[27:28], v[13:14], -v[29:30]
	v_mov_b32_e32 v0, v22
	v_mad_u64_u32 v[17:18], s[6:7], s5, v41, v[0:1]
	global_store_dwordx4 v[15:16], v[7:10], off
	v_mul_f64 v[3:4], v[3:4], s[0:1]
	v_mul_f64 v[5:6], v[5:6], s[0:1]
	;; [unrolled: 1-line block ×4, first 2 shown]
	v_mov_b32_e32 v22, v17
	v_lshlrev_b64 v[17:18], 4, v[21:22]
	v_mad_u64_u32 v[12:13], s[4:5], s4, v42, v[15:16]
	v_add_co_u32_e32 v14, vcc, v84, v17
	v_addc_co_u32_e32 v15, vcc, v85, v18, vcc
	s_movk_i32 s4, 0x5000
	global_store_dwordx4 v[14:15], v[3:6], off
	v_add_u32_e32 v13, s8, v13
	v_add_co_u32_e32 v14, vcc, s4, v1
	global_store_dwordx4 v[12:13], v[7:10], off
	v_addc_co_u32_e32 v15, vcc, 0, v2, vcc
	global_load_dwordx4 v[0:3], v[14:15], off offset:1024
	ds_read_b128 v[4:7], v146 offset:21504
	ds_read_b128 v[8:11], v146 offset:23040
	s_waitcnt vmcnt(0) lgkmcnt(1)
	v_mul_f64 v[16:17], v[6:7], v[2:3]
	v_mul_f64 v[2:3], v[4:5], v[2:3]
	v_fma_f64 v[4:5], v[4:5], v[0:1], v[16:17]
	v_fma_f64 v[2:3], v[0:1], v[6:7], -v[2:3]
	v_mul_f64 v[0:1], v[4:5], s[0:1]
	v_mul_f64 v[2:3], v[2:3], s[0:1]
	v_mov_b32_e32 v5, s3
	v_add_co_u32_e32 v4, vcc, s2, v12
	v_addc_co_u32_e32 v5, vcc, v13, v5, vcc
	global_store_dwordx4 v[4:5], v[0:3], off
	global_load_dwordx4 v[0:3], v[14:15], off offset:2560
	v_add_co_u32_e32 v4, vcc, s2, v4
	s_waitcnt vmcnt(0) lgkmcnt(0)
	v_mul_f64 v[6:7], v[10:11], v[2:3]
	v_mul_f64 v[2:3], v[8:9], v[2:3]
	v_fma_f64 v[6:7], v[8:9], v[0:1], v[6:7]
	v_fma_f64 v[2:3], v[0:1], v[10:11], -v[2:3]
	v_mul_f64 v[0:1], v[6:7], s[0:1]
	v_mul_f64 v[2:3], v[2:3], s[0:1]
	v_mov_b32_e32 v6, s3
	v_addc_co_u32_e32 v5, vcc, v5, v6, vcc
	global_store_dwordx4 v[4:5], v[0:3], off
.LBB0_23:
	s_endpgm
	.section	.rodata,"a",@progbits
	.p2align	6, 0x0
	.amdhsa_kernel bluestein_single_back_len1536_dim1_dp_op_CI_CI
		.amdhsa_group_segment_fixed_size 24576
		.amdhsa_private_segment_fixed_size 0
		.amdhsa_kernarg_size 104
		.amdhsa_user_sgpr_count 6
		.amdhsa_user_sgpr_private_segment_buffer 1
		.amdhsa_user_sgpr_dispatch_ptr 0
		.amdhsa_user_sgpr_queue_ptr 0
		.amdhsa_user_sgpr_kernarg_segment_ptr 1
		.amdhsa_user_sgpr_dispatch_id 0
		.amdhsa_user_sgpr_flat_scratch_init 0
		.amdhsa_user_sgpr_private_segment_size 0
		.amdhsa_uses_dynamic_stack 0
		.amdhsa_system_sgpr_private_segment_wavefront_offset 0
		.amdhsa_system_sgpr_workgroup_id_x 1
		.amdhsa_system_sgpr_workgroup_id_y 0
		.amdhsa_system_sgpr_workgroup_id_z 0
		.amdhsa_system_sgpr_workgroup_info 0
		.amdhsa_system_vgpr_workitem_id 0
		.amdhsa_next_free_vgpr 189
		.amdhsa_next_free_sgpr 22
		.amdhsa_reserve_vcc 1
		.amdhsa_reserve_flat_scratch 0
		.amdhsa_float_round_mode_32 0
		.amdhsa_float_round_mode_16_64 0
		.amdhsa_float_denorm_mode_32 3
		.amdhsa_float_denorm_mode_16_64 3
		.amdhsa_dx10_clamp 1
		.amdhsa_ieee_mode 1
		.amdhsa_fp16_overflow 0
		.amdhsa_exception_fp_ieee_invalid_op 0
		.amdhsa_exception_fp_denorm_src 0
		.amdhsa_exception_fp_ieee_div_zero 0
		.amdhsa_exception_fp_ieee_overflow 0
		.amdhsa_exception_fp_ieee_underflow 0
		.amdhsa_exception_fp_ieee_inexact 0
		.amdhsa_exception_int_div_zero 0
	.end_amdhsa_kernel
	.text
.Lfunc_end0:
	.size	bluestein_single_back_len1536_dim1_dp_op_CI_CI, .Lfunc_end0-bluestein_single_back_len1536_dim1_dp_op_CI_CI
                                        ; -- End function
	.section	.AMDGPU.csdata,"",@progbits
; Kernel info:
; codeLenInByte = 13428
; NumSgprs: 26
; NumVgprs: 189
; ScratchSize: 0
; MemoryBound: 0
; FloatMode: 240
; IeeeMode: 1
; LDSByteSize: 24576 bytes/workgroup (compile time only)
; SGPRBlocks: 3
; VGPRBlocks: 47
; NumSGPRsForWavesPerEU: 26
; NumVGPRsForWavesPerEU: 189
; Occupancy: 1
; WaveLimiterHint : 1
; COMPUTE_PGM_RSRC2:SCRATCH_EN: 0
; COMPUTE_PGM_RSRC2:USER_SGPR: 6
; COMPUTE_PGM_RSRC2:TRAP_HANDLER: 0
; COMPUTE_PGM_RSRC2:TGID_X_EN: 1
; COMPUTE_PGM_RSRC2:TGID_Y_EN: 0
; COMPUTE_PGM_RSRC2:TGID_Z_EN: 0
; COMPUTE_PGM_RSRC2:TIDIG_COMP_CNT: 0
	.type	__hip_cuid_efd1970f2eeed792,@object ; @__hip_cuid_efd1970f2eeed792
	.section	.bss,"aw",@nobits
	.globl	__hip_cuid_efd1970f2eeed792
__hip_cuid_efd1970f2eeed792:
	.byte	0                               ; 0x0
	.size	__hip_cuid_efd1970f2eeed792, 1

	.ident	"AMD clang version 19.0.0git (https://github.com/RadeonOpenCompute/llvm-project roc-6.4.0 25133 c7fe45cf4b819c5991fe208aaa96edf142730f1d)"
	.section	".note.GNU-stack","",@progbits
	.addrsig
	.addrsig_sym __hip_cuid_efd1970f2eeed792
	.amdgpu_metadata
---
amdhsa.kernels:
  - .args:
      - .actual_access:  read_only
        .address_space:  global
        .offset:         0
        .size:           8
        .value_kind:     global_buffer
      - .actual_access:  read_only
        .address_space:  global
        .offset:         8
        .size:           8
        .value_kind:     global_buffer
      - .actual_access:  read_only
        .address_space:  global
        .offset:         16
        .size:           8
        .value_kind:     global_buffer
      - .actual_access:  read_only
        .address_space:  global
        .offset:         24
        .size:           8
        .value_kind:     global_buffer
      - .actual_access:  read_only
        .address_space:  global
        .offset:         32
        .size:           8
        .value_kind:     global_buffer
      - .offset:         40
        .size:           8
        .value_kind:     by_value
      - .address_space:  global
        .offset:         48
        .size:           8
        .value_kind:     global_buffer
      - .address_space:  global
        .offset:         56
        .size:           8
        .value_kind:     global_buffer
      - .address_space:  global
        .offset:         64
        .size:           8
        .value_kind:     global_buffer
      - .address_space:  global
        .offset:         72
        .size:           8
        .value_kind:     global_buffer
      - .offset:         80
        .size:           4
        .value_kind:     by_value
      - .address_space:  global
        .offset:         88
        .size:           8
        .value_kind:     global_buffer
      - .address_space:  global
        .offset:         96
        .size:           8
        .value_kind:     global_buffer
    .group_segment_fixed_size: 24576
    .kernarg_segment_align: 8
    .kernarg_segment_size: 104
    .language:       OpenCL C
    .language_version:
      - 2
      - 0
    .max_flat_workgroup_size: 256
    .name:           bluestein_single_back_len1536_dim1_dp_op_CI_CI
    .private_segment_fixed_size: 0
    .sgpr_count:     26
    .sgpr_spill_count: 0
    .symbol:         bluestein_single_back_len1536_dim1_dp_op_CI_CI.kd
    .uniform_work_group_size: 1
    .uses_dynamic_stack: false
    .vgpr_count:     189
    .vgpr_spill_count: 0
    .wavefront_size: 64
amdhsa.target:   amdgcn-amd-amdhsa--gfx906
amdhsa.version:
  - 1
  - 2
...

	.end_amdgpu_metadata
